;; amdgpu-corpus repo=ROCm/rocFFT kind=compiled arch=gfx1030 opt=O3
	.text
	.amdgcn_target "amdgcn-amd-amdhsa--gfx1030"
	.amdhsa_code_object_version 6
	.protected	bluestein_single_back_len119_dim1_sp_op_CI_CI ; -- Begin function bluestein_single_back_len119_dim1_sp_op_CI_CI
	.globl	bluestein_single_back_len119_dim1_sp_op_CI_CI
	.p2align	8
	.type	bluestein_single_back_len119_dim1_sp_op_CI_CI,@function
bluestein_single_back_len119_dim1_sp_op_CI_CI: ; @bluestein_single_back_len119_dim1_sp_op_CI_CI
; %bb.0:
	s_load_dwordx4 s[0:3], s[4:5], 0x28
	v_mul_u32_u24_e32 v1, 0xf10, v0
	v_lshrrev_b32_e32 v1, 16, v1
	v_mad_u64_u32 v[52:53], null, s6, 15, v[1:2]
	v_mov_b32_e32 v53, 0
	s_waitcnt lgkmcnt(0)
	v_cmp_gt_u64_e32 vcc_lo, s[0:1], v[52:53]
	s_and_saveexec_b32 s0, vcc_lo
	s_cbranch_execz .LBB0_15
; %bb.1:
	v_mul_hi_u32 v2, 0x88888889, v52
	v_mul_lo_u16 v1, v1, 17
	s_clause 0x1
	s_load_dwordx2 s[6:7], s[4:5], 0x0
	s_load_dwordx2 s[12:13], s[4:5], 0x38
	v_sub_nc_u16 v0, v0, v1
	v_lshrrev_b32_e32 v2, 3, v2
	v_and_b32_e32 v64, 0xffff, v0
	v_cmp_gt_u16_e32 vcc_lo, 7, v0
	v_mul_lo_u32 v2, v2, 15
	v_lshlrev_b32_e32 v62, 3, v64
	v_or_b32_e32 v63, 56, v64
	v_or_b32_e32 v61, 0x70, v64
	v_sub_nc_u32_e32 v1, v52, v2
	v_mul_u32_u24_e32 v55, 0x77, v1
	v_lshlrev_b32_e32 v65, 3, v55
	s_and_saveexec_b32 s1, vcc_lo
	s_cbranch_execz .LBB0_3
; %bb.2:
	s_load_dwordx2 s[8:9], s[4:5], 0x18
	s_waitcnt lgkmcnt(0)
	global_load_dwordx2 v[4:5], v62, s[6:7]
	s_load_dwordx4 s[8:11], s[8:9], 0x0
	s_waitcnt lgkmcnt(0)
	v_mad_u64_u32 v[0:1], null, s10, v52, 0
	v_mad_u64_u32 v[2:3], null, s8, v64, 0
	;; [unrolled: 1-line block ×3, first 2 shown]
	s_mul_i32 s0, s9, 56
	s_mul_hi_u32 s10, s8, 56
	s_add_i32 s10, s10, s0
	v_mad_u64_u32 v[6:7], null, s11, v52, v[1:2]
	global_load_dwordx2 v[7:8], v62, s[6:7] offset:448
	s_mul_i32 s11, s8, 56
	v_mov_b32_e32 v1, v6
	v_lshlrev_b64 v[0:1], 3, v[0:1]
	v_add_co_u32 v26, s0, s2, v0
	v_add_co_ci_u32_e64 v27, s0, s3, v1, s0
	s_waitcnt vmcnt(1)
	v_mad_u64_u32 v[9:10], null, s9, v64, v[3:4]
	v_mad_u64_u32 v[10:11], null, s8, v63, 0
	v_mov_b32_e32 v3, v9
	v_mov_b32_e32 v9, v13
	;; [unrolled: 1-line block ×3, first 2 shown]
	v_lshlrev_b64 v[2:3], 3, v[2:3]
	v_mad_u64_u32 v[13:14], null, s9, v61, v[9:10]
	s_waitcnt vmcnt(0)
	v_mad_u64_u32 v[0:1], null, s9, v63, v[6:7]
	v_add_co_u32 v1, s0, v26, v2
	v_add_co_ci_u32_e64 v2, s0, v27, v3, s0
	v_add_co_u32 v14, s0, v1, s11
	v_add_co_ci_u32_e64 v15, s0, s10, v2, s0
	v_mov_b32_e32 v11, v0
	v_add_co_u32 v16, s0, v14, s11
	v_add_co_ci_u32_e64 v17, s0, s10, v15, s0
	v_lshlrev_b64 v[9:10], 3, v[10:11]
	v_add_co_u32 v18, s0, v16, s11
	v_add_co_ci_u32_e64 v19, s0, s10, v17, s0
	v_lshlrev_b64 v[11:12], 3, v[12:13]
	v_add_co_u32 v20, s0, v18, s11
	v_add_co_ci_u32_e64 v21, s0, s10, v19, s0
	v_add_co_u32 v22, s0, v20, s11
	v_add_co_ci_u32_e64 v23, s0, s10, v21, s0
	;; [unrolled: 2-line block ×6, first 2 shown]
	global_load_dwordx2 v[0:1], v[1:2], off
	global_load_dwordx2 v[2:3], v62, s[6:7] offset:896
	s_clause 0x2
	global_load_dwordx2 v[9:10], v[9:10], off
	global_load_dwordx2 v[11:12], v[11:12], off
	;; [unrolled: 1-line block ×3, first 2 shown]
	s_clause 0x2
	global_load_dwordx2 v[30:31], v62, s[6:7] offset:56
	global_load_dwordx2 v[32:33], v62, s[6:7] offset:112
	;; [unrolled: 1-line block ×3, first 2 shown]
	global_load_dwordx2 v[15:16], v[16:17], off
	s_clause 0x2
	global_load_dwordx2 v[36:37], v62, s[6:7] offset:504
	global_load_dwordx2 v[38:39], v62, s[6:7] offset:560
	;; [unrolled: 1-line block ×3, first 2 shown]
	s_clause 0x1
	global_load_dwordx2 v[17:18], v[18:19], off
	global_load_dwordx2 v[19:20], v[20:21], off
	v_mad_u64_u32 v[28:29], null, 0x70, s8, v[26:27]
	v_mov_b32_e32 v6, v29
	v_add_co_u32 v58, s0, v28, s11
	v_mad_u64_u32 v[42:43], null, 0x70, s9, v[6:7]
	s_clause 0x5
	global_load_dwordx2 v[43:44], v62, s[6:7] offset:224
	global_load_dwordx2 v[45:46], v62, s[6:7] offset:280
	;; [unrolled: 1-line block ×6, first 2 shown]
	global_load_dwordx2 v[21:22], v[22:23], off
	global_load_dwordx2 v[23:24], v[24:25], off
	;; [unrolled: 1-line block ×3, first 2 shown]
	v_mov_b32_e32 v29, v42
	v_add_nc_u32_e32 v42, v65, v62
	v_add_co_ci_u32_e64 v59, s0, s10, v29, s0
	v_add_co_u32 v66, s0, v58, s11
	global_load_dwordx2 v[27:28], v[28:29], off
	v_add_co_ci_u32_e64 v67, s0, s10, v59, s0
	v_add_co_u32 v68, s0, v66, s11
	global_load_dwordx2 v[58:59], v[58:59], off
	;; [unrolled: 3-line block ×5, first 2 shown]
	v_add_co_ci_u32_e64 v75, s0, s10, v73, s0
	global_load_dwordx2 v[72:73], v[72:73], off
	s_clause 0x1
	global_load_dwordx2 v[76:77], v62, s[6:7] offset:784
	global_load_dwordx2 v[78:79], v62, s[6:7] offset:840
	global_load_dwordx2 v[74:75], v[74:75], off
	v_lshl_add_u32 v29, v64, 3, v65
	s_waitcnt vmcnt(31)
	v_mul_f32_e32 v80, v1, v5
	v_mul_f32_e32 v6, v0, v5
	s_waitcnt vmcnt(29)
	v_mul_f32_e32 v5, v10, v8
	v_mul_f32_e32 v51, v9, v8
	s_waitcnt vmcnt(28)
	v_mul_f32_e32 v8, v12, v3
	v_fmac_f32_e32 v80, v0, v4
	v_fma_f32 v81, v1, v4, -v6
	s_waitcnt vmcnt(26)
	v_mul_f32_e32 v0, v14, v31
	v_fmac_f32_e32 v5, v9, v7
	v_fma_f32 v6, v10, v7, -v51
	s_waitcnt vmcnt(19)
	v_mul_f32_e32 v7, v17, v35
	v_mul_f32_e32 v60, v11, v3
	;; [unrolled: 1-line block ×5, first 2 shown]
	v_fmac_f32_e32 v0, v13, v30
	v_mul_f32_e32 v9, v18, v35
	s_waitcnt vmcnt(17)
	v_mul_f32_e32 v13, v20, v44
	v_fma_f32 v10, v18, v34, -v7
	v_mul_f32_e32 v7, v19, v44
	v_fma_f32 v1, v14, v30, -v1
	v_fma_f32 v4, v16, v32, -v4
	v_fmac_f32_e32 v3, v15, v32
	v_fmac_f32_e32 v9, v17, v34
	;; [unrolled: 1-line block ×3, first 2 shown]
	v_fma_f32 v14, v20, v43, -v7
	v_fmac_f32_e32 v8, v11, v2
	ds_write_b64 v29, v[80:81]
	s_waitcnt vmcnt(11)
	v_mul_f32_e32 v11, v21, v46
	v_mul_f32_e32 v15, v22, v46
	s_waitcnt vmcnt(10)
	v_mul_f32_e32 v18, v23, v48
	v_mul_f32_e32 v17, v24, v48
	ds_write2_b64 v42, v[0:1], v[3:4] offset0:7 offset1:14
	ds_write2_b64 v42, v[9:10], v[13:14] offset0:21 offset1:28
	s_waitcnt vmcnt(9)
	v_mul_f32_e32 v1, v25, v50
	v_fma_f32 v16, v22, v45, -v11
	v_fmac_f32_e32 v15, v21, v45
	s_waitcnt vmcnt(8)
	v_mul_f32_e32 v4, v27, v37
	v_fma_f32 v18, v24, v47, -v18
	v_fmac_f32_e32 v17, v23, v47
	v_fma_f32 v20, v26, v49, -v1
	v_mul_f32_e32 v19, v26, v50
	s_waitcnt vmcnt(7)
	v_mul_f32_e32 v7, v58, v39
	v_fma_f32 v1, v28, v36, -v4
	v_mul_f32_e32 v0, v28, v37
	v_mul_f32_e32 v3, v59, v39
	ds_write2_b64 v42, v[15:16], v[17:18] offset0:35 offset1:42
	v_fma_f32 v4, v59, v38, -v7
	s_waitcnt vmcnt(6)
	v_mul_f32_e32 v7, v66, v41
	v_mul_f32_e32 v10, v67, v41
	v_fmac_f32_e32 v19, v25, v49
	v_fmac_f32_e32 v0, v27, v36
	s_waitcnt vmcnt(5)
	v_mul_f32_e32 v9, v68, v54
	v_mul_f32_e32 v13, v69, v54
	v_fma_f32 v11, v67, v40, -v7
	v_fmac_f32_e32 v3, v58, v38
	v_fmac_f32_e32 v10, v66, v40
	s_waitcnt vmcnt(4)
	v_mul_f32_e32 v15, v71, v57
	v_fma_f32 v14, v69, v53, -v9
	v_mul_f32_e32 v7, v70, v57
	s_waitcnt vmcnt(2)
	v_mul_f32_e32 v17, v73, v77
	v_mul_f32_e32 v9, v72, v77
	s_waitcnt vmcnt(0)
	v_mul_f32_e32 v21, v75, v79
	v_mul_f32_e32 v22, v74, v79
	v_fmac_f32_e32 v13, v68, v53
	v_fmac_f32_e32 v15, v70, v56
	v_fma_f32 v16, v71, v56, -v7
	v_fmac_f32_e32 v17, v72, v76
	v_fma_f32 v18, v73, v76, -v9
	;; [unrolled: 2-line block ×3, first 2 shown]
	v_fma_f32 v9, v12, v2, -v60
	ds_write2_b64 v42, v[19:20], v[5:6] offset0:49 offset1:56
	ds_write2_b64 v42, v[0:1], v[3:4] offset0:63 offset1:70
	;; [unrolled: 1-line block ×5, first 2 shown]
.LBB0_3:
	s_or_b32 exec_lo, exec_lo, s1
	s_clause 0x1
	s_load_dwordx2 s[0:1], s[4:5], 0x20
	s_load_dwordx2 s[4:5], s[4:5], 0x8
	v_mov_b32_e32 v16, 0
	v_mov_b32_e32 v17, 0
	s_waitcnt lgkmcnt(0)
	s_barrier
	buffer_gl0_inv
                                        ; implicit-def: $vgpr23
                                        ; implicit-def: $vgpr27
                                        ; implicit-def: $vgpr39
                                        ; implicit-def: $vgpr32
                                        ; implicit-def: $vgpr12
                                        ; implicit-def: $vgpr42
                                        ; implicit-def: $vgpr46
                                        ; implicit-def: $vgpr50
	s_and_saveexec_b32 s2, vcc_lo
	s_cbranch_execz .LBB0_5
; %bb.4:
	v_lshl_add_u32 v0, v55, 3, v62
	ds_read2_b64 v[16:19], v0 offset1:7
	ds_read2_b64 v[48:51], v0 offset0:14 offset1:21
	ds_read2_b64 v[44:47], v0 offset0:28 offset1:35
	;; [unrolled: 1-line block ×7, first 2 shown]
	ds_read_b64 v[12:13], v0 offset:896
.LBB0_5:
	s_or_b32 exec_lo, exec_lo, s2
	s_waitcnt lgkmcnt(0)
	v_sub_f32_e32 v9, v19, v13
	v_add_f32_e32 v76, v12, v18
	v_sub_f32_e32 v8, v18, v12
	v_sub_f32_e32 v29, v49, v35
	v_add_f32_e32 v77, v13, v19
	v_mul_f32_e32 v57, 0xbeb8f4ab, v9
	v_add_f32_e32 v79, v34, v48
	v_sub_f32_e32 v28, v48, v34
	v_mul_f32_e32 v59, 0xbeb8f4ab, v8
	v_mul_f32_e32 v56, 0xbf2c7751, v29
	v_fmamk_f32 v0, v76, 0x3f6eb680, v57
	v_sub_f32_e32 v31, v51, v33
	v_add_f32_e32 v80, v35, v49
	v_mul_f32_e32 v58, 0xbf2c7751, v28
	v_fma_f32 v1, 0x3f6eb680, v77, -v59
	v_fmamk_f32 v2, v79, 0x3f3d2fb0, v56
	v_add_f32_e32 v0, v0, v16
	v_sub_f32_e32 v30, v50, v32
	v_add_f32_e32 v82, v32, v50
	v_mul_f32_e32 v60, 0xbf65296c, v31
	v_sub_f32_e32 v66, v45, v23
	v_fma_f32 v3, 0x3f3d2fb0, v80, -v58
	v_add_f32_e32 v1, v1, v17
	v_add_f32_e32 v0, v2, v0
	;; [unrolled: 1-line block ×3, first 2 shown]
	v_mul_f32_e32 v67, 0xbf65296c, v30
	v_fmamk_f32 v2, v82, 0x3ee437d1, v60
	v_sub_f32_e32 v115, v44, v22
	v_add_f32_e32 v86, v22, v44
	v_mul_f32_e32 v68, 0xbf7ee86f, v66
	v_sub_f32_e32 v126, v47, v21
	v_add_f32_e32 v1, v3, v1
	v_fma_f32 v3, 0x3ee437d1, v83, -v67
	v_add_f32_e32 v89, v23, v45
	v_mul_f32_e32 v69, 0xbf7ee86f, v115
	v_add_f32_e32 v0, v2, v0
	v_fmamk_f32 v2, v86, 0x3dbcf732, v68
	v_add_f32_e32 v102, v20, v46
	v_mul_f32_e32 v70, 0xbf763a35, v126
	v_sub_f32_e32 v127, v46, v20
	v_sub_f32_e32 v129, v41, v27
	v_add_f32_e32 v1, v3, v1
	v_fma_f32 v3, 0x3dbcf732, v89, -v69
	v_add_f32_e32 v0, v2, v0
	v_fmamk_f32 v2, v102, 0xbe8c1d8e, v70
	v_add_f32_e32 v108, v21, v47
	v_mul_f32_e32 v72, 0xbf763a35, v127
	v_add_f32_e32 v103, v26, v40
	v_mul_f32_e32 v71, 0xbf4c4adb, v129
	v_sub_f32_e32 v130, v40, v26
	v_sub_f32_e32 v143, v43, v25
	v_add_f32_e32 v1, v3, v1
	v_add_f32_e32 v0, v2, v0
	v_fma_f32 v2, 0xbe8c1d8e, v108, -v72
	v_fmamk_f32 v3, v103, 0xbf1a4643, v71
	v_add_f32_e32 v116, v27, v41
	v_mul_f32_e32 v74, 0xbf4c4adb, v130
	v_add_f32_e32 v113, v24, v42
	v_mul_f32_e32 v73, 0xbf06c442, v143
	v_sub_f32_e32 v146, v42, v24
	v_add_f32_e32 v1, v2, v1
	v_fma_f32 v2, 0xbf1a4643, v116, -v74
	v_add_f32_e32 v0, v3, v0
	v_fmamk_f32 v3, v113, 0xbf59a7d5, v73
	v_add_f32_e32 v114, v25, v43
	v_mul_f32_e32 v75, 0xbf06c442, v146
	v_sub_f32_e32 v149, v37, v39
	v_mul_f32_e32 v90, 0xbf2c7751, v9
	v_add_f32_e32 v1, v2, v1
	v_add_f32_e32 v0, v3, v0
	v_fma_f32 v2, 0xbf59a7d5, v114, -v75
	v_add_f32_e32 v121, v38, v36
	v_mul_f32_e32 v78, 0xbe3c28d5, v149
	v_fmamk_f32 v3, v76, 0x3f3d2fb0, v90
	v_mul_f32_e32 v91, 0xbf7ee86f, v29
	v_mul_f32_e32 v98, 0xbf2c7751, v8
	v_add_f32_e32 v1, v2, v1
	v_fmamk_f32 v2, v121, 0xbf7ba420, v78
	v_add_f32_e32 v3, v3, v16
	v_fmamk_f32 v4, v79, 0x3dbcf732, v91
	v_fma_f32 v5, 0x3f3d2fb0, v77, -v98
	v_mul_f32_e32 v100, 0xbf7ee86f, v28
	v_mul_f32_e32 v92, 0xbf4c4adb, v31
	v_add_f32_e32 v53, v2, v0
	v_add_f32_e32 v0, v4, v3
	;; [unrolled: 1-line block ×3, first 2 shown]
	v_fma_f32 v3, 0x3dbcf732, v80, -v100
	v_fmamk_f32 v4, v82, 0xbf1a4643, v92
	v_mul_f32_e32 v96, 0xbf4c4adb, v30
	v_mul_f32_e32 v94, 0xbe3c28d5, v66
	;; [unrolled: 1-line block ×3, first 2 shown]
	v_add_f32_e32 v2, v3, v2
	v_add_f32_e32 v0, v4, v0
	v_fma_f32 v3, 0xbf1a4643, v83, -v96
	v_fmamk_f32 v4, v86, 0xbf7ba420, v94
	v_mul_f32_e32 v95, 0x3f06c442, v126
	v_mul_f32_e32 v99, 0x3f06c442, v127
	;; [unrolled: 1-line block ×3, first 2 shown]
	v_add_f32_e32 v2, v3, v2
	v_add_f32_e32 v0, v4, v0
	v_fma_f32 v3, 0xbf7ba420, v89, -v97
	v_fmamk_f32 v4, v102, 0xbf59a7d5, v95
	v_sub_f32_e32 v151, v36, v38
	v_mul_f32_e32 v101, 0x3f763a35, v130
	v_mul_f32_e32 v109, 0xbf65296c, v9
	v_add_f32_e32 v2, v3, v2
	v_fma_f32 v3, 0xbf59a7d5, v108, -v99
	v_add_f32_e32 v0, v4, v0
	v_fmamk_f32 v4, v103, 0xbe8c1d8e, v84
	v_add_f32_e32 v128, v39, v37
	v_mul_f32_e32 v81, 0xbe3c28d5, v151
	v_add_f32_e32 v2, v3, v2
	v_fma_f32 v3, 0xbe8c1d8e, v116, -v101
	v_add_f32_e32 v0, v4, v0
	v_mul_f32_e32 v85, 0x3f65296c, v143
	v_mul_f32_e32 v88, 0x3f65296c, v146
	v_fmamk_f32 v4, v76, 0x3ee437d1, v109
	v_mul_f32_e32 v110, 0xbf4c4adb, v29
	v_fma_f32 v5, 0xbf7ba420, v128, -v81
	v_add_f32_e32 v2, v3, v2
	v_fmamk_f32 v3, v113, 0x3ee437d1, v85
	v_fma_f32 v6, 0x3ee437d1, v114, -v88
	v_add_f32_e32 v4, v4, v16
	v_fmamk_f32 v7, v79, 0xbf1a4643, v110
	v_mul_f32_e32 v111, 0x3e3c28d5, v31
	v_mul_f32_e32 v118, 0xbf65296c, v8
	v_add_f32_e32 v54, v5, v1
	v_add_f32_e32 v0, v3, v0
	;; [unrolled: 1-line block ×4, first 2 shown]
	v_fmamk_f32 v3, v82, 0xbf7ba420, v111
	v_mul_f32_e32 v104, 0x3f763a35, v66
	v_fma_f32 v5, 0x3ee437d1, v77, -v118
	v_mul_f32_e32 v119, 0xbf4c4adb, v28
	v_mul_f32_e32 v105, 0x3f2c7751, v126
	v_add_f32_e32 v2, v3, v2
	v_fmamk_f32 v3, v86, 0xbe8c1d8e, v104
	v_add_f32_e32 v5, v5, v17
	v_fma_f32 v6, 0xbf1a4643, v80, -v119
	v_mul_f32_e32 v120, 0x3e3c28d5, v30
	v_mul_f32_e32 v87, 0x3eb8f4ab, v149
	v_add_f32_e32 v2, v3, v2
	v_fmamk_f32 v3, v102, 0x3f3d2fb0, v105
	v_mul_f32_e32 v106, 0xbeb8f4ab, v129
	v_add_f32_e32 v5, v6, v5
	v_fma_f32 v6, 0xbf7ba420, v83, -v120
	v_mul_f32_e32 v122, 0x3f763a35, v115
	v_mul_f32_e32 v93, 0x3eb8f4ab, v151
	v_fmamk_f32 v4, v121, 0x3f6eb680, v87
	v_add_f32_e32 v2, v3, v2
	v_fmamk_f32 v3, v103, 0x3f6eb680, v106
	v_mul_f32_e32 v107, 0xbf7ee86f, v143
	v_add_f32_e32 v5, v6, v5
	v_fma_f32 v6, 0xbe8c1d8e, v89, -v122
	v_mul_f32_e32 v123, 0x3f2c7751, v127
	v_fma_f32 v7, 0x3f6eb680, v128, -v93
	v_add_f32_e32 v3, v3, v2
	v_fmamk_f32 v10, v113, 0x3dbcf732, v107
	v_add_f32_e32 v2, v4, v0
	v_mul_f32_e32 v112, 0xbf06c442, v149
	v_add_f32_e32 v4, v6, v5
	v_fma_f32 v5, 0x3f3d2fb0, v108, -v123
	v_mul_f32_e32 v117, 0xbeb8f4ab, v130
	v_mul_f32_e32 v133, 0xbf7ee86f, v9
	v_add_f32_e32 v0, v10, v3
	v_fmamk_f32 v6, v121, 0xbf59a7d5, v112
	v_add_f32_e32 v3, v7, v1
	v_add_f32_e32 v1, v5, v4
	v_fma_f32 v4, 0x3f6eb680, v116, -v117
	v_fmamk_f32 v5, v76, 0x3dbcf732, v133
	v_mul_f32_e32 v134, 0xbe3c28d5, v29
	v_mul_f32_e32 v142, 0xbf7ee86f, v8
	v_add_f32_e32 v0, v6, v0
	v_add_f32_e32 v1, v4, v1
	v_mul_f32_e32 v124, 0xbf7ee86f, v146
	v_add_f32_e32 v4, v5, v16
	v_fmamk_f32 v5, v79, 0xbf7ba420, v134
	v_fma_f32 v6, 0x3dbcf732, v77, -v142
	v_mul_f32_e32 v144, 0xbe3c28d5, v28
	v_mul_f32_e32 v131, 0x3f763a35, v31
	v_fma_f32 v7, 0x3dbcf732, v114, -v124
	v_add_f32_e32 v4, v5, v4
	v_add_f32_e32 v5, v6, v17
	v_fma_f32 v6, 0xbf7ba420, v80, -v144
	v_fmamk_f32 v10, v82, 0xbe8c1d8e, v131
	v_mul_f32_e32 v145, 0x3f763a35, v30
	v_mul_f32_e32 v132, 0x3eb8f4ab, v66
	v_add_f32_e32 v1, v7, v1
	v_add_f32_e32 v5, v6, v5
	;; [unrolled: 1-line block ×3, first 2 shown]
	v_fma_f32 v6, 0xbe8c1d8e, v83, -v145
	v_fmamk_f32 v7, v86, 0x3f6eb680, v132
	v_mul_f32_e32 v141, 0x3eb8f4ab, v115
	v_mul_f32_e32 v135, 0xbf65296c, v126
	;; [unrolled: 1-line block ×3, first 2 shown]
	v_add_f32_e32 v5, v6, v5
	v_add_f32_e32 v4, v7, v4
	v_fma_f32 v6, 0x3f6eb680, v89, -v141
	v_fmamk_f32 v7, v102, 0x3ee437d1, v135
	v_mul_f32_e32 v136, 0xbf06c442, v129
	v_mul_f32_e32 v140, 0xbf06c442, v130
	v_mul_f32_e32 v152, 0xbf763a35, v9
	v_add_f32_e32 v5, v6, v5
	v_fma_f32 v6, 0x3ee437d1, v108, -v138
	v_add_f32_e32 v4, v7, v4
	v_fmamk_f32 v7, v103, 0xbf59a7d5, v136
	v_mul_f32_e32 v137, 0x3f4c4adb, v143
	v_mul_f32_e32 v153, 0x3f06c442, v29
	v_add_f32_e32 v5, v6, v5
	v_fma_f32 v6, 0xbf59a7d5, v116, -v140
	v_add_f32_e32 v4, v7, v4
	v_fmamk_f32 v7, v76, 0xbe8c1d8e, v152
	v_fmamk_f32 v11, v79, 0xbf59a7d5, v153
	v_mul_f32_e32 v154, 0x3f2c7751, v31
	v_add_f32_e32 v5, v6, v5
	v_fmamk_f32 v6, v113, 0xbf1a4643, v137
	v_add_f32_e32 v7, v7, v16
	v_mul_f32_e32 v155, 0xbf65296c, v66
	v_mul_f32_e32 v125, 0xbf06c442, v151
	;; [unrolled: 1-line block ×3, first 2 shown]
	v_add_f32_e32 v4, v6, v4
	v_add_f32_e32 v6, v11, v7
	v_fmamk_f32 v7, v82, 0x3f3d2fb0, v154
	v_mul_f32_e32 v158, 0xbe3c28d5, v126
	v_fma_f32 v10, 0xbf59a7d5, v128, -v125
	v_mul_f32_e32 v147, 0x3f4c4adb, v146
	v_fma_f32 v14, 0xbe8c1d8e, v77, -v162
	v_add_f32_e32 v6, v7, v6
	v_fmamk_f32 v7, v86, 0x3ee437d1, v155
	v_mul_f32_e32 v163, 0x3f06c442, v28
	v_mul_f32_e32 v156, 0x3f7ee86f, v129
	v_add_f32_e32 v1, v10, v1
	v_fma_f32 v10, 0xbf1a4643, v114, -v147
	v_add_f32_e32 v6, v7, v6
	v_fmamk_f32 v7, v102, 0xbf7ba420, v158
	v_mul_f32_e32 v139, 0x3f2c7751, v149
	v_add_f32_e32 v14, v14, v17
	v_fma_f32 v15, 0xbf59a7d5, v80, -v163
	v_mul_f32_e32 v159, 0x3f2c7751, v30
	v_add_f32_e32 v6, v7, v6
	v_fmamk_f32 v7, v103, 0x3dbcf732, v156
	v_mul_f32_e32 v157, 0xbeb8f4ab, v143
	v_add_f32_e32 v5, v10, v5
	v_fmamk_f32 v10, v121, 0x3f3d2fb0, v139
	v_add_f32_e32 v14, v15, v14
	v_fma_f32 v15, 0x3f3d2fb0, v83, -v159
	v_mul_f32_e32 v160, 0xbf65296c, v115
	v_add_f32_e32 v7, v7, v6
	v_fmamk_f32 v164, v113, 0x3f6eb680, v157
	v_mul_f32_e32 v150, 0xbf4c4adb, v149
	v_mul_f32_e32 v148, 0x3f2c7751, v151
	v_add_f32_e32 v14, v15, v14
	v_fma_f32 v15, 0x3ee437d1, v89, -v160
	v_mul_f32_e32 v161, 0xbe3c28d5, v127
	v_add_f32_e32 v6, v10, v4
	v_add_f32_e32 v4, v164, v7
	v_fmamk_f32 v10, v121, 0xbf1a4643, v150
	v_mul_f32_e32 v173, 0xbf4c4adb, v9
	v_fma_f32 v11, 0x3f3d2fb0, v128, -v148
	v_add_f32_e32 v14, v15, v14
	v_fma_f32 v15, 0xbf7ba420, v108, -v161
	v_add_f32_e32 v4, v10, v4
	v_mul_f32_e32 v175, 0xbf4c4adb, v8
	v_mul_f32_e32 v164, 0x3f7ee86f, v130
	v_fmamk_f32 v10, v76, 0xbf1a4643, v173
	v_mul_f32_e32 v174, 0x3f763a35, v29
	v_add_f32_e32 v7, v11, v5
	v_add_f32_e32 v5, v15, v14
	v_fma_f32 v11, 0xbf1a4643, v77, -v175
	v_mul_f32_e32 v176, 0x3f763a35, v28
	v_fma_f32 v14, 0x3dbcf732, v116, -v164
	v_add_f32_e32 v10, v10, v16
	v_fmamk_f32 v15, v79, 0xbe8c1d8e, v174
	v_mul_f32_e32 v171, 0xbeb8f4ab, v31
	v_add_f32_e32 v11, v11, v17
	v_fma_f32 v165, 0xbe8c1d8e, v80, -v176
	v_mul_f32_e32 v177, 0xbeb8f4ab, v30
	v_add_f32_e32 v5, v14, v5
	v_add_f32_e32 v10, v15, v10
	v_fmamk_f32 v14, v82, 0x3f6eb680, v171
	v_mul_f32_e32 v168, 0xbf06c442, v66
	v_add_f32_e32 v11, v165, v11
	v_fma_f32 v15, 0x3f6eb680, v83, -v177
	v_mul_f32_e32 v179, 0xbf06c442, v115
	v_add_f32_e32 v10, v14, v10
	v_fmamk_f32 v14, v86, 0xbf59a7d5, v168
	v_mul_f32_e32 v169, 0x3f7ee86f, v126
	v_mul_f32_e32 v165, 0xbeb8f4ab, v146
	v_add_f32_e32 v11, v15, v11
	v_fma_f32 v15, 0xbf59a7d5, v89, -v179
	v_mul_f32_e32 v180, 0x3f7ee86f, v127
	v_add_f32_e32 v10, v14, v10
	v_fmamk_f32 v14, v102, 0x3dbcf732, v169
	v_mul_f32_e32 v170, 0xbf2c7751, v129
	v_fma_f32 v166, 0x3f6eb680, v114, -v165
	v_add_f32_e32 v11, v15, v11
	v_fma_f32 v15, 0x3dbcf732, v108, -v180
	v_mul_f32_e32 v182, 0xbf2c7751, v130
	v_add_f32_e32 v10, v14, v10
	v_fmamk_f32 v14, v103, 0x3f3d2fb0, v170
	v_mul_f32_e32 v172, 0xbe3c28d5, v143
	v_add_f32_e32 v5, v166, v5
	v_add_f32_e32 v11, v15, v11
	v_fma_f32 v15, 0x3f3d2fb0, v116, -v182
	v_mul_f32_e32 v181, 0xbe3c28d5, v146
	v_mul_f32_e32 v166, 0xbf4c4adb, v151
	v_add_f32_e32 v10, v14, v10
	v_fmamk_f32 v14, v113, 0xbf7ba420, v172
	v_add_f32_e32 v11, v15, v11
	v_fma_f32 v15, 0xbf7ba420, v114, -v181
	v_mul_f32_e32 v167, 0x3f65296c, v149
	v_fma_f32 v183, 0xbf1a4643, v128, -v166
	v_add_f32_e32 v10, v14, v10
	v_mul_f32_e32 v14, 0xbf06c442, v9
	v_add_f32_e32 v11, v15, v11
	v_fmamk_f32 v15, v121, 0x3ee437d1, v167
	v_mul_f32_e32 v185, 0xbf06c442, v8
	v_add_f32_e32 v5, v183, v5
	v_fma_f32 v183, 0xbf59a7d5, v76, -v14
	v_mul_f32_e32 v186, 0x3f65296c, v29
	v_add_f32_e32 v10, v15, v10
	v_fmamk_f32 v15, v77, 0xbf59a7d5, v185
	v_mul_f32_e32 v187, 0x3f65296c, v28
	v_add_f32_e32 v183, v183, v16
	v_fma_f32 v188, 0x3ee437d1, v79, -v186
	;; [unrolled: 6-line block ×3, first 2 shown]
	v_mul_f32_e32 v192, 0x3f4c4adb, v66
	v_mul_f32_e32 v178, 0x3f65296c, v151
	v_add_f32_e32 v15, v190, v15
	v_fmamk_f32 v190, v83, 0x3dbcf732, v191
	v_mul_f32_e32 v193, 0x3f4c4adb, v115
	v_add_f32_e32 v183, v188, v183
	v_fma_f32 v188, 0xbf1a4643, v86, -v192
	v_mul_f32_e32 v194, 0xbeb8f4ab, v126
	v_fma_f32 v184, 0x3ee437d1, v128, -v178
	v_add_f32_e32 v15, v190, v15
	v_fmamk_f32 v190, v89, 0xbf1a4643, v193
	v_mul_f32_e32 v195, 0xbeb8f4ab, v127
	v_add_f32_e32 v183, v188, v183
	v_fma_f32 v188, 0x3f6eb680, v102, -v194
	v_add_f32_e32 v11, v184, v11
	v_add_f32_e32 v15, v190, v15
	v_fmamk_f32 v184, v108, 0x3f6eb680, v195
	v_fmac_f32_e32 v14, 0xbf59a7d5, v76
	v_add_f32_e32 v183, v188, v183
	v_mul_f32_e32 v188, 0xbe3c28d5, v129
	v_mul_f32_e32 v190, 0xbe3c28d5, v130
	v_add_f32_e32 v15, v184, v15
	v_add_f32_e32 v14, v14, v16
	v_fmac_f32_e32 v186, 0x3ee437d1, v79
	v_fma_f32 v184, 0xbf7ba420, v103, -v188
	v_mul_f32_e32 v197, 0x3f2c7751, v143
	v_fmamk_f32 v196, v116, 0xbf7ba420, v190
	v_mul_f32_e32 v198, 0x3f2c7751, v146
	v_add_f32_e32 v14, v186, v14
	v_fmac_f32_e32 v189, 0x3dbcf732, v82
	v_add_f32_e32 v183, v184, v183
	v_fma_f32 v184, 0x3f3d2fb0, v113, -v197
	v_add_f32_e32 v15, v196, v15
	v_fmamk_f32 v186, v114, 0x3f3d2fb0, v198
	v_add_f32_e32 v14, v189, v14
	v_fmac_f32_e32 v192, 0xbf1a4643, v86
	v_add_f32_e32 v183, v184, v183
	v_fma_f32 v184, 0xbf59a7d5, v77, -v185
	v_add_f32_e32 v15, v186, v15
	v_mul_f32_e32 v185, 0xbf763a35, v149
	v_add_f32_e32 v14, v192, v14
	v_fmac_f32_e32 v194, 0x3f6eb680, v102
	v_add_f32_e32 v184, v184, v17
	v_fma_f32 v186, 0x3ee437d1, v80, -v187
	v_fma_f32 v189, 0xbe8c1d8e, v121, -v185
	v_fmac_f32_e32 v188, 0xbf7ba420, v103
	v_add_f32_e32 v192, v194, v14
	v_fmac_f32_e32 v197, 0x3f3d2fb0, v113
	v_add_f32_e32 v184, v186, v184
	v_fma_f32 v186, 0x3dbcf732, v83, -v191
	v_add_f32_e32 v14, v189, v183
	v_add_f32_e32 v183, v188, v192
	v_mul_f32_e32 v9, 0xbe3c28d5, v9
	v_fmac_f32_e32 v185, 0xbe8c1d8e, v121
	v_add_f32_e32 v184, v186, v184
	v_fma_f32 v186, 0xbf1a4643, v89, -v193
	v_add_f32_e32 v183, v197, v183
	v_fma_f32 v188, 0xbf7ba420, v76, -v9
	v_mul_f32_e32 v29, 0x3eb8f4ab, v29
	v_mul_f32_e32 v189, 0xbe3c28d5, v8
	v_add_f32_e32 v184, v186, v184
	v_fma_f32 v186, 0x3f6eb680, v108, -v195
	v_add_f32_e32 v8, v185, v183
	v_fma_f32 v185, 0x3f6eb680, v79, -v29
	v_mul_f32_e32 v28, 0x3eb8f4ab, v28
	v_mul_f32_e32 v30, 0xbf06c442, v30
	v_add_f32_e32 v183, v186, v184
	v_add_f32_e32 v184, v188, v16
	v_fmamk_f32 v186, v77, 0xbf7ba420, v189
	v_mul_f32_e32 v31, 0xbf06c442, v31
	v_mul_f32_e32 v115, 0x3f2c7751, v115
	v_fma_f32 v188, 0xbf7ba420, v116, -v190
	v_add_f32_e32 v184, v185, v184
	v_add_f32_e32 v185, v186, v17
	v_fmamk_f32 v186, v80, 0x3f6eb680, v28
	v_fma_f32 v190, 0xbf59a7d5, v82, -v31
	v_mul_f32_e32 v66, 0x3f2c7751, v66
	v_add_f32_e32 v183, v188, v183
	v_mul_f32_e32 v126, 0xbf4c4adb, v126
	v_add_f32_e32 v185, v186, v185
	v_fmamk_f32 v186, v83, 0xbf59a7d5, v30
	v_add_f32_e32 v184, v190, v184
	v_fma_f32 v188, 0x3f3d2fb0, v86, -v66
	v_fmac_f32_e32 v9, 0xbf7ba420, v76
	v_mul_f32_e32 v127, 0xbf4c4adb, v127
	v_add_f32_e32 v185, v186, v185
	v_fmamk_f32 v186, v89, 0x3f3d2fb0, v115
	v_add_f32_e32 v184, v188, v184
	v_fma_f32 v188, 0xbf1a4643, v102, -v126
	v_add_f32_e32 v9, v9, v16
	v_fmac_f32_e32 v29, 0x3f6eb680, v79
	v_add_f32_e32 v185, v186, v185
	v_fma_f32 v186, 0xbf7ba420, v77, -v189
	v_fma_f32 v28, 0x3f6eb680, v80, -v28
	v_add_f32_e32 v184, v188, v184
	v_fmamk_f32 v188, v108, 0xbf1a4643, v127
	v_mul_f32_e32 v130, 0x3f65296c, v130
	v_add_f32_e32 v186, v186, v17
	v_add_f32_e32 v9, v29, v9
	v_fmac_f32_e32 v31, 0xbf59a7d5, v82
	v_fma_f32 v29, 0xbf59a7d5, v83, -v30
	v_add_f32_e32 v30, v188, v185
	v_add_f32_e32 v28, v28, v186
	v_fmamk_f32 v185, v116, 0x3ee437d1, v130
	v_add_f32_e32 v9, v31, v9
	v_fmac_f32_e32 v66, 0x3f3d2fb0, v86
	v_fma_f32 v31, 0x3f3d2fb0, v89, -v115
	v_add_f32_e32 v28, v29, v28
	v_mul_f32_e32 v115, 0xbf763a35, v146
	v_mul_f32_e32 v129, 0x3f65296c, v129
	v_add_f32_e32 v30, v185, v30
	v_add_f32_e32 v9, v66, v9
	v_add_f32_e32 v28, v31, v28
	v_fmamk_f32 v31, v114, 0xbe8c1d8e, v115
	v_fmac_f32_e32 v126, 0xbf1a4643, v102
	v_fma_f32 v127, 0xbf1a4643, v108, -v127
	v_fma_f32 v189, 0x3ee437d1, v103, -v129
	v_mul_f32_e32 v29, 0xbf763a35, v143
	v_add_f32_e32 v30, v31, v30
	v_add_f32_e32 v9, v126, v9
	v_fmac_f32_e32 v129, 0x3ee437d1, v103
	v_add_f32_e32 v28, v127, v28
	v_fma_f32 v31, 0x3ee437d1, v116, -v130
	v_mul_f32_e32 v187, 0xbf763a35, v151
	v_fma_f32 v190, 0x3f3d2fb0, v114, -v198
	v_add_f32_e32 v184, v189, v184
	v_fma_f32 v66, 0xbe8c1d8e, v113, -v29
	v_mul_f32_e32 v126, 0x3f7ee86f, v149
	v_mul_f32_e32 v127, 0x3f7ee86f, v151
	v_add_f32_e32 v9, v129, v9
	v_fmac_f32_e32 v29, 0xbe8c1d8e, v113
	v_add_f32_e32 v28, v31, v28
	v_fma_f32 v31, 0xbe8c1d8e, v114, -v115
	v_fmamk_f32 v191, v128, 0xbe8c1d8e, v187
	v_add_f32_e32 v183, v190, v183
	v_fma_f32 v143, 0xbe8c1d8e, v128, -v187
	v_add_f32_e32 v66, v66, v184
	v_fma_f32 v115, 0x3dbcf732, v121, -v126
	v_fmamk_f32 v129, v128, 0x3dbcf732, v127
	v_add_f32_e32 v130, v29, v9
	v_fmac_f32_e32 v126, 0x3dbcf732, v121
	v_add_f32_e32 v31, v31, v28
	v_fma_f32 v127, 0x3dbcf732, v128, -v127
	v_add_f32_e32 v15, v191, v15
	v_add_f32_e32 v9, v143, v183
	;; [unrolled: 1-line block ×6, first 2 shown]
	v_mul_lo_u16 v66, v64, 17
	s_barrier
	buffer_gl0_inv
	s_and_saveexec_b32 s2, vcc_lo
	s_cbranch_execz .LBB0_7
; %bb.6:
	v_mul_f32_e32 v126, 0x3f6eb680, v77
	v_mul_f32_e32 v129, 0x3f3d2fb0, v77
	;; [unrolled: 1-line block ×12, first 2 shown]
	v_add_f32_e32 v77, v175, v77
	v_mul_f32_e32 v195, 0x3ee437d1, v83
	v_mul_f32_e32 v197, 0xbf1a4643, v83
	v_mul_f32_e32 v199, 0xbf7ba420, v83
	v_mul_f32_e32 v201, 0xbe8c1d8e, v83
	v_mul_f32_e32 v203, 0x3f3d2fb0, v83
	v_mul_f32_e32 v83, 0x3f6eb680, v83
	v_add_f32_e32 v77, v77, v17
	v_add_f32_e32 v80, v176, v80
	v_mul_f32_e32 v205, 0x3dbcf732, v89
	v_mul_f32_e32 v207, 0xbf7ba420, v89
	v_mul_f32_e32 v209, 0xbe8c1d8e, v89
	v_mul_f32_e32 v211, 0x3f6eb680, v89
	v_mul_f32_e32 v213, 0x3ee437d1, v89
	v_mul_f32_e32 v89, 0xbf59a7d5, v89
	v_add_f32_e32 v77, v80, v77
	;; [unrolled: 8-line block ×3, first 2 shown]
	v_add_f32_e32 v80, v179, v89
	v_mul_f32_e32 v115, 0x3f6eb680, v76
	v_mul_f32_e32 v127, 0x3f3d2fb0, v76
	;; [unrolled: 1-line block ×12, first 2 shown]
	v_add_f32_e32 v77, v80, v77
	v_add_f32_e32 v80, v180, v108
	v_mul_f32_e32 v184, 0x3f3d2fb0, v79
	v_mul_f32_e32 v186, 0x3dbcf732, v79
	;; [unrolled: 1-line block ×12, first 2 shown]
	v_add_f32_e32 v77, v80, v77
	v_add_f32_e32 v80, v182, v116
	v_sub_f32_e32 v76, v76, v173
	v_mul_f32_e32 v194, 0x3ee437d1, v82
	v_mul_f32_e32 v196, 0xbf1a4643, v82
	;; [unrolled: 1-line block ×12, first 2 shown]
	v_add_f32_e32 v77, v80, v77
	v_add_f32_e32 v80, v181, v114
	;; [unrolled: 1-line block ×3, first 2 shown]
	v_sub_f32_e32 v79, v79, v174
	v_mul_f32_e32 v204, 0x3dbcf732, v86
	v_mul_f32_e32 v206, 0xbf7ba420, v86
	;; [unrolled: 1-line block ×12, first 2 shown]
	v_add_f32_e32 v121, v162, v183
	v_add_f32_e32 v77, v80, v77
	;; [unrolled: 1-line block ×4, first 2 shown]
	v_sub_f32_e32 v82, v82, v171
	v_mul_f32_e32 v214, 0xbe8c1d8e, v102
	v_mul_f32_e32 v216, 0xbf59a7d5, v102
	v_mul_f32_e32 v218, 0x3f3d2fb0, v102
	v_mul_f32_e32 v220, 0x3ee437d1, v102
	v_mul_f32_e32 v222, 0xbf7ba420, v102
	v_mul_f32_e32 v102, 0x3dbcf732, v102
	v_add_f32_e32 v121, v121, v17
	v_add_f32_e32 v128, v163, v193
	v_add_f32_e32 v76, v80, v77
	v_sub_f32_e32 v77, v151, v152
	v_add_f32_e32 v79, v82, v79
	v_sub_f32_e32 v80, v86, v168
	v_mul_f32_e32 v224, 0xbf1a4643, v103
	v_mul_f32_e32 v226, 0xbe8c1d8e, v103
	v_mul_f32_e32 v228, 0x3f6eb680, v103
	v_mul_f32_e32 v230, 0xbf59a7d5, v103
	v_mul_f32_e32 v232, 0x3dbcf732, v103
	v_mul_f32_e32 v103, 0x3f3d2fb0, v103
	v_add_f32_e32 v82, v128, v121
	v_add_f32_e32 v86, v159, v203
	v_add_f32_e32 v77, v77, v16
	v_sub_f32_e32 v121, v192, v153
	v_add_f32_e32 v79, v80, v79
	;; [unrolled: 12-line block ×3, first 2 shown]
	v_sub_f32_e32 v80, v103, v170
	v_add_f32_e32 v82, v86, v82
	v_add_f32_e32 v86, v161, v223
	;; [unrolled: 1-line block ×3, first 2 shown]
	v_sub_f32_e32 v102, v212, v155
	v_add_f32_e32 v79, v80, v79
	v_sub_f32_e32 v80, v113, v172
	v_add_f32_e32 v82, v86, v82
	v_add_f32_e32 v86, v164, v233
	v_add_f32_e32 v77, v102, v77
	v_sub_f32_e32 v102, v222, v158
	v_add_f32_e32 v103, v80, v79
	v_add_f32_e32 v79, v142, v149
	v_add_f32_e32 v80, v86, v82
	v_add_f32_e32 v82, v165, v177
	v_add_f32_e32 v77, v102, v77
	v_sub_f32_e32 v86, v232, v156
	v_add_f32_e32 v79, v79, v17
	v_add_f32_e32 v102, v144, v191
	;; [unrolled: 6-line block ×3, first 2 shown]
	v_sub_f32_e32 v113, v146, v133
	v_sub_f32_e32 v102, v114, v167
	v_add_f32_e32 v80, v82, v80
	v_add_f32_e32 v77, v83, v77
	;; [unrolled: 1-line block ×5, first 2 shown]
	v_sub_f32_e32 v86, v190, v134
	v_add_f32_e32 v114, v118, v143
	v_sub_f32_e32 v113, v116, v150
	v_add_f32_e32 v79, v82, v79
	v_add_f32_e32 v82, v138, v221
	v_add_f32_e32 v83, v86, v83
	v_sub_f32_e32 v86, v200, v131
	v_add_f32_e32 v114, v114, v17
	v_add_f32_e32 v116, v119, v189
	v_add_f32_e32 v79, v82, v79
	v_add_f32_e32 v82, v140, v231
	v_add_f32_e32 v83, v86, v83
	v_sub_f32_e32 v86, v210, v132
	v_add_f32_e32 v114, v116, v114
	v_add_f32_e32 v116, v120, v199
	;; [unrolled: 6-line block ×4, first 2 shown]
	v_add_f32_e32 v114, v148, v243
	v_sub_f32_e32 v116, v238, v137
	v_add_f32_e32 v83, v83, v82
	v_add_f32_e32 v19, v19, v17
	v_add_f32_e32 v86, v113, v86
	v_add_f32_e32 v113, v117, v229
	v_add_f32_e32 v82, v114, v77
	v_add_f32_e32 v77, v116, v83
	v_add_f32_e32 v18, v18, v16
	v_sub_f32_e32 v91, v186, v91
	v_add_f32_e32 v83, v113, v86
	v_add_f32_e32 v86, v124, v237
	v_add_f32_e32 v19, v49, v19
	v_add_f32_e32 v18, v48, v18
	v_sub_f32_e32 v48, v226, v84
	v_sub_f32_e32 v109, v130, v109
	v_add_f32_e32 v83, v86, v83
	v_add_f32_e32 v86, v125, v180
	;; [unrolled: 1-line block ×4, first 2 shown]
	v_sub_f32_e32 v50, v235, v85
	v_add_f32_e32 v98, v98, v129
	v_add_f32_e32 v86, v86, v83
	v_sub_f32_e32 v83, v127, v90
	v_add_f32_e32 v19, v45, v19
	v_add_f32_e32 v44, v44, v18
	;; [unrolled: 1-line block ×7, first 2 shown]
	v_sub_f32_e32 v47, v115, v57
	v_sub_f32_e32 v110, v188, v110
	v_add_f32_e32 v83, v91, v83
	v_sub_f32_e32 v91, v196, v92
	v_add_f32_e32 v19, v41, v19
	v_add_f32_e32 v40, v40, v44
	;; [unrolled: 1-line block ×5, first 2 shown]
	v_sub_f32_e32 v91, v206, v94
	v_add_f32_e32 v19, v43, v19
	v_add_f32_e32 v40, v42, v40
	v_sub_f32_e32 v44, v184, v56
	v_add_f32_e32 v100, v100, v187
	v_add_f32_e32 v83, v91, v83
	;; [unrolled: 3-line block ×3, first 2 shown]
	v_add_f32_e32 v16, v44, v16
	v_sub_f32_e32 v37, v194, v60
	v_add_f32_e32 v83, v91, v83
	v_add_f32_e32 v19, v39, v19
	;; [unrolled: 1-line block ×4, first 2 shown]
	v_sub_f32_e32 v110, v198, v111
	v_add_f32_e32 v48, v48, v83
	v_add_f32_e32 v19, v25, v19
	;; [unrolled: 1-line block ×9, first 2 shown]
	v_sub_f32_e32 v37, v204, v68
	v_add_f32_e32 v19, v27, v19
	v_add_f32_e32 v17, v48, v17
	;; [unrolled: 1-line block ×4, first 2 shown]
	v_sub_f32_e32 v104, v208, v104
	v_add_f32_e32 v96, v96, v98
	v_add_f32_e32 v17, v41, v17
	;; [unrolled: 1-line block ×6, first 2 shown]
	v_sub_f32_e32 v36, v214, v70
	v_add_f32_e32 v17, v41, v17
	v_add_f32_e32 v19, v21, v19
	v_add_f32_e32 v20, v20, v24
	v_add_f32_e32 v90, v104, v109
	v_sub_f32_e32 v104, v218, v105
	v_add_f32_e32 v17, v40, v17
	v_add_f32_e32 v96, v97, v96
	v_add_f32_e32 v97, v99, v217
	v_add_f32_e32 v16, v36, v16
	;; [unrolled: 5-line block ×3, first 2 shown]
	v_add_f32_e32 v90, v104, v90
	v_sub_f32_e32 v100, v228, v106
	v_add_f32_e32 v94, v97, v96
	v_add_f32_e32 v96, v101, v227
	;; [unrolled: 1-line block ×5, first 2 shown]
	v_sub_f32_e32 v21, v175, v73
	v_add_f32_e32 v19, v33, v19
	v_add_f32_e32 v20, v32, v20
	;; [unrolled: 1-line block ×3, first 2 shown]
	v_sub_f32_e32 v92, v176, v107
	v_add_f32_e32 v94, v96, v94
	v_add_f32_e32 v88, v88, v236
	;; [unrolled: 1-line block ×5, first 2 shown]
	v_sub_f32_e32 v21, v89, v78
	v_add_f32_e32 v23, v35, v19
	v_add_f32_e32 v24, v34, v20
	v_and_b32_e32 v25, 0xffff, v66
	v_add_f32_e32 v90, v92, v90
	v_sub_f32_e32 v92, v108, v112
	v_add_f32_e32 v49, v88, v94
	v_add_f32_e32 v84, v93, v241
	v_sub_f32_e32 v46, v240, v87
	v_sub_f32_e32 v111, v242, v139
	v_add_f32_e32 v20, v22, v17
	v_add_f32_e32 v19, v21, v16
	;; [unrolled: 1-line block ×4, first 2 shown]
	v_add_lshl_u32 v16, v55, v25, 3
	v_add_f32_e32 v85, v92, v90
	v_add_f32_e32 v18, v84, v49
	;; [unrolled: 1-line block ×5, first 2 shown]
	ds_write2_b64 v16, v[12:13], v[19:20] offset1:1
	ds_write2_b64 v16, v[17:18], v[85:86] offset0:2 offset1:3
	ds_write2_b64 v16, v[81:82], v[79:80] offset0:4 offset1:5
	;; [unrolled: 1-line block ×7, first 2 shown]
	ds_write_b64 v16, v[53:54] offset:128
.LBB0_7:
	s_or_b32 exec_lo, exec_lo, s2
	v_mul_u32_u24_e32 v12, 6, v64
	s_load_dwordx4 s[0:3], s[0:1], 0x0
	s_waitcnt lgkmcnt(0)
	s_barrier
	buffer_gl0_inv
	v_lshlrev_b32_e32 v12, 3, v12
	v_add_lshl_u32 v68, v55, v64, 3
	v_lshl_add_u32 v67, v64, 3, v65
	s_clause 0x2
	global_load_dwordx4 v[24:27], v12, s[4:5]
	global_load_dwordx4 v[20:23], v12, s[4:5] offset:16
	global_load_dwordx4 v[16:19], v12, s[4:5] offset:32
	ds_read2_b64 v[32:35], v68 offset1:17
	ds_read2_b64 v[36:39], v68 offset0:34 offset1:51
	ds_read2_b64 v[40:43], v68 offset0:68 offset1:85
	ds_read_b64 v[12:13], v68 offset:816
	s_waitcnt vmcnt(2) lgkmcnt(3)
	v_mul_f32_e32 v44, v35, v25
	v_mul_f32_e32 v45, v34, v25
	s_waitcnt lgkmcnt(2)
	v_mul_f32_e32 v46, v37, v27
	v_mul_f32_e32 v47, v36, v27
	s_waitcnt vmcnt(0) lgkmcnt(1)
	v_mul_f32_e32 v55, v43, v17
	v_mul_f32_e32 v56, v42, v17
	s_waitcnt lgkmcnt(0)
	v_mul_f32_e32 v57, v13, v19
	v_mul_f32_e32 v58, v12, v19
	;; [unrolled: 1-line block ×6, first 2 shown]
	v_fma_f32 v34, v34, v24, -v44
	v_fmac_f32_e32 v45, v35, v24
	v_fma_f32 v35, v36, v26, -v46
	v_fmac_f32_e32 v47, v37, v26
	;; [unrolled: 2-line block ×6, first 2 shown]
	v_add_f32_e32 v38, v34, v12
	v_add_f32_e32 v39, v45, v58
	;; [unrolled: 1-line block ×4, first 2 shown]
	v_sub_f32_e32 v12, v34, v12
	v_sub_f32_e32 v34, v45, v58
	;; [unrolled: 1-line block ×4, first 2 shown]
	v_add_f32_e32 v42, v36, v37
	v_add_f32_e32 v43, v49, v51
	v_sub_f32_e32 v36, v37, v36
	v_sub_f32_e32 v37, v51, v49
	v_add_f32_e32 v44, v40, v38
	v_add_f32_e32 v45, v41, v39
	v_sub_f32_e32 v46, v40, v38
	v_sub_f32_e32 v47, v41, v39
	;; [unrolled: 1-line block ×6, first 2 shown]
	v_add_f32_e32 v48, v36, v13
	v_add_f32_e32 v49, v37, v35
	v_sub_f32_e32 v50, v36, v13
	v_sub_f32_e32 v51, v37, v35
	;; [unrolled: 1-line block ×4, first 2 shown]
	v_add_f32_e32 v42, v42, v44
	v_add_f32_e32 v43, v43, v45
	v_sub_f32_e32 v36, v12, v36
	v_sub_f32_e32 v37, v34, v37
	v_add_f32_e32 v12, v48, v12
	v_add_f32_e32 v34, v49, v34
	v_mul_f32_e32 v38, 0x3f4a47b2, v38
	v_mul_f32_e32 v39, 0x3f4a47b2, v39
	;; [unrolled: 1-line block ×8, first 2 shown]
	v_add_f32_e32 v32, v32, v42
	v_add_f32_e32 v33, v33, v43
	v_fmamk_f32 v40, v40, 0x3d64c772, v38
	v_fmamk_f32 v41, v41, 0x3d64c772, v39
	v_fma_f32 v44, 0x3f3bfb3b, v46, -v44
	v_fma_f32 v45, 0x3f3bfb3b, v47, -v45
	;; [unrolled: 1-line block ×4, first 2 shown]
	v_fmamk_f32 v46, v36, 0x3eae86e6, v48
	v_fmamk_f32 v47, v37, 0x3eae86e6, v49
	v_fma_f32 v13, 0x3f5ff5aa, v13, -v48
	v_fma_f32 v48, 0x3f5ff5aa, v35, -v49
	;; [unrolled: 1-line block ×4, first 2 shown]
	v_fmamk_f32 v35, v42, 0xbf955555, v32
	v_fmamk_f32 v36, v43, 0xbf955555, v33
	v_fmac_f32_e32 v46, 0x3ee1c552, v12
	v_fmac_f32_e32 v47, 0x3ee1c552, v34
	;; [unrolled: 1-line block ×6, first 2 shown]
	v_add_f32_e32 v12, v40, v35
	v_add_f32_e32 v51, v41, v36
	;; [unrolled: 1-line block ×7, first 2 shown]
	v_sub_f32_e32 v35, v51, v46
	v_add_f32_e32 v36, v50, v42
	v_sub_f32_e32 v37, v43, v49
	v_sub_f32_e32 v38, v40, v48
	v_add_f32_e32 v39, v13, v41
	v_add_f32_e32 v40, v48, v40
	v_sub_f32_e32 v41, v41, v13
	v_sub_f32_e32 v42, v42, v50
	v_add_f32_e32 v43, v49, v43
	v_sub_f32_e32 v12, v12, v47
	v_add_f32_e32 v13, v46, v51
	ds_write2_b64 v67, v[32:33], v[34:35] offset1:17
	ds_write2_b64 v67, v[36:37], v[38:39] offset0:34 offset1:51
	ds_write2_b64 v67, v[40:41], v[42:43] offset0:68 offset1:85
	ds_write_b64 v67, v[12:13] offset:816
	s_waitcnt lgkmcnt(0)
	s_barrier
	buffer_gl0_inv
	s_and_saveexec_b32 s8, vcc_lo
	s_cbranch_execz .LBB0_9
; %bb.8:
	s_add_u32 s4, s6, 0x3b8
	s_addc_u32 s5, s7, 0
	s_clause 0x10
	global_load_dwordx2 v[59:60], v62, s[6:7] offset:952
	global_load_dwordx2 v[89:90], v62, s[4:5] offset:56
	;; [unrolled: 1-line block ×17, first 2 shown]
	ds_read2_b64 v[44:47], v67 offset1:7
	ds_read2_b64 v[48:51], v67 offset0:14 offset1:21
	ds_read2_b64 v[55:58], v67 offset0:28 offset1:35
	;; [unrolled: 1-line block ×7, first 2 shown]
	ds_read_b64 v[121:122], v67 offset:896
	s_waitcnt vmcnt(16) lgkmcnt(8)
	v_mul_f32_e32 v123, v45, v60
	v_mul_f32_e32 v124, v44, v60
	s_waitcnt vmcnt(15)
	v_mul_f32_e32 v125, v47, v90
	v_mul_f32_e32 v60, v46, v90
	s_waitcnt vmcnt(14) lgkmcnt(7)
	v_mul_f32_e32 v126, v49, v92
	v_mul_f32_e32 v90, v48, v92
	s_waitcnt vmcnt(13)
	v_mul_f32_e32 v127, v51, v94
	v_mul_f32_e32 v92, v50, v94
	;; [unrolled: 6-line block ×8, first 2 shown]
	s_waitcnt vmcnt(0) lgkmcnt(0)
	v_mul_f32_e32 v140, v122, v120
	v_mul_f32_e32 v118, v121, v120
	v_fma_f32 v123, v44, v59, -v123
	v_fmac_f32_e32 v124, v45, v59
	v_fma_f32 v59, v46, v89, -v125
	v_fmac_f32_e32 v60, v47, v89
	;; [unrolled: 2-line block ×17, first 2 shown]
	ds_write2_b64 v67, v[123:124], v[59:60] offset1:7
	ds_write2_b64 v67, v[89:90], v[91:92] offset0:14 offset1:21
	ds_write2_b64 v67, v[93:94], v[95:96] offset0:28 offset1:35
	;; [unrolled: 1-line block ×7, first 2 shown]
	ds_write_b64 v67, v[117:118] offset:896
.LBB0_9:
	s_or_b32 exec_lo, exec_lo, s8
	s_waitcnt lgkmcnt(0)
	s_barrier
	buffer_gl0_inv
	s_and_saveexec_b32 s4, vcc_lo
	s_cbranch_execz .LBB0_11
; %bb.10:
	ds_read2_b64 v[32:35], v67 offset1:7
	ds_read2_b64 v[36:39], v67 offset0:14 offset1:21
	ds_read2_b64 v[40:43], v67 offset0:28 offset1:35
	;; [unrolled: 1-line block ×7, first 2 shown]
	ds_read_b64 v[53:54], v67 offset:896
.LBB0_11:
	s_or_b32 exec_lo, exec_lo, s4
	s_waitcnt lgkmcnt(0)
	s_barrier
	buffer_gl0_inv
	s_and_saveexec_b32 s4, vcc_lo
	s_cbranch_execz .LBB0_13
; %bb.12:
	v_add_f32_e32 v60, v54, v35
	v_sub_f32_e32 v74, v34, v53
	v_add_f32_e32 v188, v3, v37
	v_sub_f32_e32 v70, v36, v2
	v_add_f32_e32 v186, v1, v39
	v_mul_f32_e32 v88, 0xbf7ba420, v60
	v_sub_f32_e32 v71, v38, v0
	v_mul_f32_e32 v90, 0x3f6eb680, v188
	v_add_f32_e32 v181, v7, v41
	v_mul_f32_e32 v91, 0xbf59a7d5, v186
	v_fmamk_f32 v44, v74, 0x3e3c28d5, v88
	v_sub_f32_e32 v69, v40, v6
	v_fmamk_f32 v45, v70, 0xbeb8f4ab, v90
	v_add_f32_e32 v182, v5, v43
	v_mul_f32_e32 v92, 0x3f3d2fb0, v181
	v_add_f32_e32 v44, v33, v44
	v_fmamk_f32 v46, v71, 0x3f06c442, v91
	v_sub_f32_e32 v148, v35, v54
	v_sub_f32_e32 v72, v42, v4
	v_add_f32_e32 v59, v11, v13
	v_add_f32_e32 v44, v45, v44
	;; [unrolled: 1-line block ×3, first 2 shown]
	v_mul_f32_e32 v97, 0xbf1a4643, v182
	v_fmamk_f32 v45, v69, 0xbf2c7751, v92
	v_sub_f32_e32 v149, v37, v3
	v_add_f32_e32 v44, v46, v44
	v_mul_f32_e32 v96, 0xbe3c28d5, v148
	v_sub_f32_e32 v73, v12, v10
	v_mul_f32_e32 v94, 0x3ee437d1, v59
	v_fmamk_f32 v46, v72, 0x3f4c4adb, v97
	v_add_f32_e32 v44, v45, v44
	v_add_f32_e32 v77, v2, v36
	v_mul_f32_e32 v95, 0x3eb8f4ab, v149
	v_fmamk_f32 v47, v76, 0xbf7ba420, v96
	v_sub_f32_e32 v161, v39, v1
	v_fmamk_f32 v45, v73, 0xbf65296c, v94
	v_add_f32_e32 v44, v46, v44
	v_fmamk_f32 v46, v77, 0x3f6eb680, v95
	v_add_f32_e32 v47, v32, v47
	v_add_f32_e32 v79, v0, v38
	v_mul_f32_e32 v89, 0xbf06c442, v161
	v_sub_f32_e32 v168, v41, v7
	v_add_f32_e32 v171, v9, v15
	v_add_f32_e32 v44, v45, v44
	;; [unrolled: 1-line block ×3, first 2 shown]
	v_fmamk_f32 v46, v79, 0xbf59a7d5, v89
	v_add_f32_e32 v80, v6, v40
	v_mul_f32_e32 v85, 0x3f2c7751, v168
	v_sub_f32_e32 v169, v43, v5
	v_mul_f32_e32 v93, 0xbe8c1d8e, v171
	v_sub_f32_e32 v75, v14, v8
	v_add_f32_e32 v174, v31, v29
	v_add_f32_e32 v45, v46, v45
	v_fmamk_f32 v46, v80, 0x3f3d2fb0, v85
	v_add_f32_e32 v81, v4, v42
	v_mul_f32_e32 v86, 0xbf4c4adb, v169
	v_sub_f32_e32 v165, v13, v11
	v_fmamk_f32 v47, v75, 0x3f763a35, v93
	v_mul_f32_e32 v100, 0x3dbcf732, v174
	v_sub_f32_e32 v78, v28, v30
	v_add_f32_e32 v45, v46, v45
	v_fmamk_f32 v46, v81, 0xbf1a4643, v86
	v_add_f32_e32 v82, v10, v12
	v_mul_f32_e32 v87, 0x3f65296c, v165
	v_mul_f32_e32 v115, 0xbf59a7d5, v60
	v_add_f32_e32 v44, v47, v44
	v_fmamk_f32 v47, v78, 0xbf7ee86f, v100
	v_add_f32_e32 v46, v46, v45
	v_fmamk_f32 v48, v82, 0x3ee437d1, v87
	v_fmamk_f32 v49, v74, 0x3f06c442, v115
	v_mul_f32_e32 v101, 0x3ee437d1, v188
	v_add_f32_e32 v45, v47, v44
	v_sub_f32_e32 v172, v15, v9
	v_add_f32_e32 v44, v48, v46
	v_add_f32_e32 v46, v33, v49
	v_fmamk_f32 v47, v70, 0xbf65296c, v101
	v_mul_f32_e32 v102, 0x3dbcf732, v186
	v_add_f32_e32 v84, v8, v14
	v_mul_f32_e32 v98, 0xbf763a35, v172
	v_sub_f32_e32 v173, v29, v31
	v_add_f32_e32 v46, v47, v46
	v_fmamk_f32 v47, v71, 0x3f7ee86f, v102
	v_mul_f32_e32 v106, 0xbf1a4643, v181
	v_fmamk_f32 v48, v84, 0xbe8c1d8e, v98
	v_add_f32_e32 v83, v30, v28
	v_mul_f32_e32 v99, 0x3f7ee86f, v173
	v_add_f32_e32 v46, v47, v46
	v_fmamk_f32 v47, v69, 0xbf4c4adb, v106
	v_mul_f32_e32 v107, 0x3f6eb680, v182
	v_add_f32_e32 v44, v48, v44
	v_fmamk_f32 v48, v83, 0x3dbcf732, v99
	;; [unrolled: 3-line block ×85, first 2 shown]
	v_mul_f32_e32 v197, 0x3ee437d1, v171
	v_add_f32_e32 v35, v35, v33
	v_add_f32_e32 v199, v32, v126
	v_fmamk_f32 v201, v77, 0x3dbcf732, v211
	v_mul_f32_e32 v176, 0xbf4c4adb, v161
	v_add_f32_e32 v190, v190, v177
	v_fmamk_f32 v202, v75, 0xbf65296c, v197
	v_mul_f32_e32 v126, 0x3f6eb680, v174
	v_add_f32_e32 v37, v37, v35
	v_add_f32_e32 v34, v34, v32
	v_add_f32_e32 v201, v201, v199
	v_fmamk_f32 v203, v79, 0xbf1a4643, v176
	v_mul_f32_e32 v177, 0xbe3c28d5, v168
	v_add_f32_e32 v202, v202, v190
	v_fmamk_f32 v212, v78, 0xbeb8f4ab, v126
	v_mul_f32_e32 v199, 0x3f6eb680, v60
	v_add_f32_e32 v37, v39, v37
	;; [unrolled: 8-line block ×6, first 2 shown]
	v_add_f32_e32 v12, v12, v36
	v_add_f32_e32 v212, v215, v212
	v_fmamk_f32 v215, v83, 0x3f6eb680, v181
	v_add_f32_e32 v213, v214, v213
	v_fmamk_f32 v214, v72, 0x3f763a35, v182
	v_mul_f32_e32 v35, 0xbf1a4643, v59
	v_add_f32_e32 v15, v29, v15
	v_add_f32_e32 v12, v14, v12
	;; [unrolled: 1-line block ×4, first 2 shown]
	v_fmamk_f32 v39, v73, 0x3f4c4adb, v35
	v_mul_f32_e32 v34, 0xbf59a7d5, v171
	v_mul_f32_e32 v148, 0xbeb8f4ab, v148
	v_add_f32_e32 v15, v31, v15
	v_add_f32_e32 v28, v28, v12
	;; [unrolled: 1-line block ×3, first 2 shown]
	v_fmamk_f32 v39, v75, 0x3f06c442, v34
	v_fmamk_f32 v41, v76, 0x3f6eb680, v148
	v_mul_f32_e32 v40, 0xbf2c7751, v149
	v_add_f32_e32 v9, v9, v15
	v_add_f32_e32 v15, v30, v28
	v_fmac_f32_e32 v88, 0xbe3c28d5, v74
	v_add_f32_e32 v38, v39, v38
	v_add_f32_e32 v39, v32, v41
	v_fmamk_f32 v41, v77, 0x3f3d2fb0, v40
	v_mul_f32_e32 v42, 0xbf65296c, v161
	v_add_f32_e32 v9, v11, v9
	v_add_f32_e32 v8, v8, v15
	;; [unrolled: 1-line block ×3, first 2 shown]
	v_fmac_f32_e32 v90, 0x3eb8f4ab, v70
	v_mul_f32_e32 v13, 0xbf7ba420, v174
	v_add_f32_e32 v36, v41, v39
	v_fmamk_f32 v37, v79, 0x3ee437d1, v42
	v_mul_f32_e32 v39, 0xbf7ee86f, v168
	v_add_f32_e32 v5, v5, v9
	v_add_f32_e32 v8, v10, v8
	;; [unrolled: 1-line block ×3, first 2 shown]
	v_fmac_f32_e32 v91, 0xbf06c442, v71
	v_fmamk_f32 v14, v78, 0x3e3c28d5, v13
	v_add_f32_e32 v29, v37, v36
	v_fmamk_f32 v36, v80, 0x3dbcf732, v39
	v_mul_f32_e32 v31, 0xbf763a35, v169
	v_add_f32_e32 v5, v7, v5
	v_add_f32_e32 v4, v4, v8
	;; [unrolled: 1-line block ×3, first 2 shown]
	v_fmac_f32_e32 v92, 0x3f2c7751, v69
	v_add_f32_e32 v12, v14, v38
	v_add_f32_e32 v14, v36, v29
	v_fmamk_f32 v28, v81, 0xbe8c1d8e, v31
	v_mul_f32_e32 v30, 0xbf4c4adb, v165
	v_add_f32_e32 v1, v1, v5
	v_add_f32_e32 v4, v6, v4
	;; [unrolled: 1-line block ×3, first 2 shown]
	v_fmac_f32_e32 v97, 0xbf4c4adb, v72
	v_add_f32_e32 v14, v28, v14
	v_fmamk_f32 v15, v82, 0xbf1a4643, v30
	v_mul_f32_e32 v36, 0xbf06c442, v172
	v_add_f32_e32 v1, v3, v1
	v_add_f32_e32 v0, v0, v4
	;; [unrolled: 1-line block ×3, first 2 shown]
	v_fmac_f32_e32 v94, 0x3f65296c, v73
	v_add_f32_e32 v10, v15, v14
	v_fmamk_f32 v8, v84, 0xbf59a7d5, v36
	v_mul_f32_e32 v37, 0xbe3c28d5, v173
	v_fma_f32 v4, 0xbf7ba420, v76, -v96
	v_add_f32_e32 v0, v2, v0
	v_add_f32_e32 v2, v94, v3
	v_fmac_f32_e32 v93, 0xbf763a35, v75
	v_add_f32_e32 v6, v8, v10
	v_fmamk_f32 v7, v83, 0xbf7ba420, v37
	v_add_f32_e32 v3, v32, v4
	v_fma_f32 v4, 0x3f6eb680, v77, -v95
	v_fmac_f32_e32 v115, 0xbf06c442, v74
	v_add_f32_e32 v2, v93, v2
	v_fmac_f32_e32 v100, 0x3f7ee86f, v78
	v_add_f32_e32 v11, v7, v6
	v_add_f32_e32 v4, v4, v3
	v_fma_f32 v5, 0xbf59a7d5, v79, -v89
	v_add_f32_e32 v6, v33, v115
	v_fmac_f32_e32 v101, 0x3f65296c, v70
	v_add_f32_e32 v3, v100, v2
	v_fma_f32 v2, 0xbf59a7d5, v76, -v119
	v_add_f32_e32 v4, v5, v4
	v_fma_f32 v5, 0x3f3d2fb0, v80, -v85
	v_add_f32_e32 v6, v101, v6
	v_fmac_f32_e32 v102, 0xbf7ee86f, v71
	v_add_f32_e32 v2, v32, v2
	v_fma_f32 v7, 0x3ee437d1, v77, -v120
	;; [unrolled: 6-line block ×6, first 2 shown]
	v_fmac_f32_e32 v117, 0xbf4c4adb, v74
	v_add_f32_e32 v2, v5, v4
	v_add_f32_e32 v4, v108, v6
	v_fmac_f32_e32 v109, 0xbf763a35, v78
	v_add_f32_e32 v6, v8, v7
	v_fma_f32 v7, 0x3f3d2fb0, v84, -v129
	v_add_f32_e32 v8, v33, v117
	v_fmac_f32_e32 v114, 0x3f763a35, v70
	v_add_f32_e32 v5, v109, v4
	v_fma_f32 v4, 0xbf1a4643, v76, -v131
	v_add_f32_e32 v6, v7, v6
	v_fma_f32 v7, 0xbe8c1d8e, v83, -v116
	v_add_f32_e32 v8, v114, v8
	v_fmac_f32_e32 v103, 0xbeb8f4ab, v71
	v_add_f32_e32 v9, v32, v4
	v_fma_f32 v10, 0xbe8c1d8e, v77, -v133
	v_add_f32_e32 v4, v7, v6
	v_fmac_f32_e32 v151, 0xbf763a35, v74
	v_add_f32_e32 v6, v103, v8
	v_fmac_f32_e32 v104, 0xbf06c442, v69
	v_add_f32_e32 v7, v10, v9
	v_fma_f32 v8, 0x3f6eb680, v79, -v122
	v_add_f32_e32 v9, v33, v151
	v_fmac_f32_e32 v152, 0x3f06c442, v70
	;; [unrolled: 6-line block ×6, first 2 shown]
	v_add_f32_e32 v7, v112, v6
	v_fma_f32 v6, 0xbe8c1d8e, v76, -v156
	v_add_f32_e32 v8, v10, v8
	v_fma_f32 v10, 0x3ee437d1, v83, -v125
	v_add_f32_e32 v9, v157, v9
	v_fmac_f32_e32 v137, 0xbeb8f4ab, v75
	v_add_f32_e32 v14, v32, v6
	v_fma_f32 v15, 0xbf59a7d5, v77, -v158
	v_fmac_f32_e32 v170, 0xbf7ee86f, v74
	v_add_f32_e32 v6, v10, v8
	v_add_f32_e32 v8, v137, v9
	v_fmac_f32_e32 v138, 0xbf4c4adb, v78
	v_add_f32_e32 v10, v15, v14
	v_fma_f32 v14, 0x3f3d2fb0, v79, -v139
	v_add_f32_e32 v15, v33, v170
	v_fmac_f32_e32 v142, 0xbe3c28d5, v70
	v_add_f32_e32 v9, v138, v8
	v_fma_f32 v8, 0x3dbcf732, v76, -v179
	v_add_f32_e32 v10, v14, v10
	v_fma_f32 v14, 0x3ee437d1, v80, -v118
	v_add_f32_e32 v15, v142, v15
	v_fmac_f32_e32 v143, 0x3f763a35, v71
	v_add_f32_e32 v8, v32, v8
	v_fma_f32 v28, 0xbf7ba420, v77, -v180
	;; [unrolled: 6-line block ×6, first 2 shown]
	v_add_f32_e32 v8, v14, v10
	v_fmac_f32_e32 v178, 0xbf65296c, v74
	v_add_f32_e32 v10, v159, v15
	v_fmac_f32_e32 v160, 0x3f2c7751, v78
	v_add_f32_e32 v14, v29, v28
	v_fma_f32 v28, 0xbf1a4643, v84, -v191
	v_add_f32_e32 v29, v33, v178
	v_fmac_f32_e32 v167, 0xbf4c4adb, v70
	v_add_f32_e32 v15, v160, v10
	v_fma_f32 v10, 0x3ee437d1, v76, -v192
	v_add_f32_e32 v14, v28, v14
	v_fma_f32 v28, 0x3f3d2fb0, v83, -v175
	v_add_f32_e32 v29, v167, v29
	v_fmac_f32_e32 v144, 0x3e3c28d5, v71
	v_add_f32_e32 v10, v32, v10
	v_fma_f32 v38, 0xbf1a4643, v77, -v193
	v_fmac_f32_e32 v204, 0xbf2c7751, v74
	v_add_f32_e32 v14, v28, v14
	v_add_f32_e32 v28, v144, v29
	v_fmac_f32_e32 v145, 0x3f763a35, v69
	v_add_f32_e32 v10, v38, v10
	v_fma_f32 v29, 0xbf7ba420, v79, -v184
	v_add_f32_e32 v38, v33, v204
	v_fmac_f32_e32 v205, 0xbf7ee86f, v70
	v_add_f32_e32 v28, v145, v28
	v_fmac_f32_e32 v146, 0x3f2c7751, v72
	v_add_f32_e32 v10, v29, v10
	v_fma_f32 v29, 0xbe8c1d8e, v80, -v185
	v_add_f32_e32 v38, v205, v38
	v_fmac_f32_e32 v206, 0xbf4c4adb, v71
	;; [unrolled: 6-line block ×5, first 2 shown]
	v_add_f32_e32 v29, v164, v28
	v_fma_f32 v28, 0x3f3d2fb0, v76, -v209
	v_add_f32_e32 v10, v41, v10
	v_fma_f32 v41, 0xbf59a7d5, v83, -v189
	v_add_f32_e32 v38, v210, v38
	v_fmac_f32_e32 v197, 0x3f65296c, v75
	v_add_f32_e32 v43, v32, v28
	v_fmac_f32_e32 v199, 0xbeb8f4ab, v74
	v_add_f32_e32 v28, v41, v10
	v_add_f32_e32 v0, v53, v0
	;; [unrolled: 1-line block ×3, first 2 shown]
	v_fma_f32 v38, 0x3f6eb680, v76, -v148
	v_fma_f32 v53, 0x3dbcf732, v77, -v211
	v_add_f32_e32 v33, v33, v199
	v_fmac_f32_e32 v201, 0xbf2c7751, v70
	v_fmac_f32_e32 v202, 0xbf65296c, v71
	v_add_f32_e32 v32, v32, v38
	v_fma_f32 v38, 0x3f3d2fb0, v77, -v40
	v_add_f32_e32 v41, v53, v43
	v_fma_f32 v43, 0xbf1a4643, v79, -v176
	v_add_f32_e32 v33, v201, v33
	v_fmac_f32_e32 v203, 0xbf7ee86f, v69
	v_add_f32_e32 v32, v38, v32
	v_fma_f32 v38, 0x3ee437d1, v79, -v42
	v_add_f32_e32 v40, v43, v41
	v_fma_f32 v41, 0xbf7ba420, v80, -v177
	v_add_f32_e32 v33, v202, v33
	;; [unrolled: 6-line block ×3, first 2 shown]
	v_fma_f32 v31, 0xbe8c1d8e, v81, -v31
	v_add_f32_e32 v32, v38, v32
	v_fmac_f32_e32 v35, 0xbf4c4adb, v73
	v_add_f32_e32 v39, v41, v40
	v_fma_f32 v40, 0xbe8c1d8e, v82, -v188
	v_add_f32_e32 v33, v182, v33
	v_add_f32_e32 v31, v31, v32
	v_fma_f32 v30, 0xbf1a4643, v82, -v30
	v_fmac_f32_e32 v34, 0xbf06c442, v75
	v_add_f32_e32 v38, v40, v39
	v_fma_f32 v39, 0x3ee437d1, v84, -v186
	v_add_f32_e32 v33, v35, v33
	v_add_f32_e32 v30, v30, v31
	v_fma_f32 v31, 0xbf59a7d5, v84, -v36
	v_and_b32_e32 v36, 0xffff, v66
	v_add_f32_e32 v1, v54, v1
	v_fmac_f32_e32 v126, 0x3eb8f4ab, v78
	v_add_f32_e32 v32, v39, v38
	v_fma_f32 v35, 0x3f6eb680, v83, -v181
	v_add_f32_e32 v33, v34, v33
	v_fmac_f32_e32 v13, 0xbe3c28d5, v78
	v_add_f32_e32 v34, v31, v30
	v_fma_f32 v37, 0xbf7ba420, v83, -v37
	v_lshl_add_u32 v36, v36, 3, v65
	v_add_f32_e32 v31, v126, v10
	v_add_f32_e32 v30, v35, v32
	;; [unrolled: 1-line block ×4, first 2 shown]
	ds_write2_b64 v36, v[0:1], v[11:12] offset1:1
	ds_write2_b64 v36, v[59:60], v[57:58] offset0:2 offset1:3
	ds_write2_b64 v36, v[55:56], v[50:51] offset0:4 offset1:5
	;; [unrolled: 1-line block ×7, first 2 shown]
	ds_write_b64 v36, v[32:33] offset:128
.LBB0_13:
	s_or_b32 exec_lo, exec_lo, s4
	s_waitcnt lgkmcnt(0)
	s_barrier
	buffer_gl0_inv
	ds_read2_b64 v[0:3], v68 offset1:17
	ds_read2_b64 v[4:7], v68 offset0:34 offset1:51
	ds_read2_b64 v[8:11], v68 offset0:68 offset1:85
	ds_read_b64 v[12:13], v68 offset:816
	s_waitcnt lgkmcnt(3)
	v_mul_f32_e32 v14, v25, v3
	v_mul_f32_e32 v15, v25, v2
	s_waitcnt lgkmcnt(2)
	v_mul_f32_e32 v25, v27, v5
	v_mul_f32_e32 v27, v27, v4
	;; [unrolled: 1-line block ×4, first 2 shown]
	s_waitcnt lgkmcnt(1)
	v_mul_f32_e32 v30, v17, v11
	v_mul_f32_e32 v17, v17, v10
	s_waitcnt lgkmcnt(0)
	v_mul_f32_e32 v31, v19, v13
	v_mul_f32_e32 v19, v19, v12
	v_mul_f32_e32 v29, v23, v9
	v_mul_f32_e32 v23, v23, v8
	v_fmac_f32_e32 v14, v24, v2
	v_fma_f32 v2, v24, v3, -v15
	v_fmac_f32_e32 v25, v26, v4
	v_fma_f32 v3, v26, v5, -v27
	v_fma_f32 v4, v20, v7, -v21
	v_fmac_f32_e32 v31, v18, v12
	v_fma_f32 v5, v18, v13, -v19
	v_fmac_f32_e32 v30, v16, v10
	;; [unrolled: 2-line block ×3, first 2 shown]
	v_fmac_f32_e32 v29, v22, v8
	v_fma_f32 v6, v22, v9, -v23
	v_add_f32_e32 v8, v14, v31
	v_add_f32_e32 v9, v2, v5
	v_sub_f32_e32 v2, v2, v5
	v_add_f32_e32 v5, v25, v30
	v_add_f32_e32 v11, v3, v7
	v_sub_f32_e32 v10, v14, v31
	v_sub_f32_e32 v12, v25, v30
	;; [unrolled: 1-line block ×3, first 2 shown]
	v_add_f32_e32 v7, v28, v29
	v_add_f32_e32 v13, v4, v6
	v_sub_f32_e32 v14, v29, v28
	v_sub_f32_e32 v4, v6, v4
	v_add_f32_e32 v6, v5, v8
	v_add_f32_e32 v15, v11, v9
	v_sub_f32_e32 v16, v5, v8
	v_sub_f32_e32 v17, v11, v9
	;; [unrolled: 1-line block ×6, first 2 shown]
	v_add_f32_e32 v18, v14, v12
	v_add_f32_e32 v19, v4, v3
	v_sub_f32_e32 v20, v14, v12
	v_sub_f32_e32 v21, v4, v3
	v_add_f32_e32 v6, v7, v6
	v_add_f32_e32 v7, v13, v15
	v_sub_f32_e32 v12, v12, v10
	v_sub_f32_e32 v3, v3, v2
	;; [unrolled: 1-line block ×4, first 2 shown]
	v_add_f32_e32 v10, v18, v10
	v_add_f32_e32 v2, v19, v2
	;; [unrolled: 1-line block ×4, first 2 shown]
	v_mul_f32_e32 v8, 0x3f4a47b2, v8
	v_mul_f32_e32 v9, 0x3f4a47b2, v9
	;; [unrolled: 1-line block ×8, first 2 shown]
	v_fmamk_f32 v6, v6, 0xbf955555, v0
	v_fmamk_f32 v7, v7, 0xbf955555, v1
	;; [unrolled: 1-line block ×4, first 2 shown]
	v_fma_f32 v13, 0x3f3bfb3b, v16, -v13
	v_fma_f32 v15, 0x3f3bfb3b, v17, -v15
	v_fma_f32 v8, 0xbf3bfb3b, v16, -v8
	v_fma_f32 v9, 0xbf3bfb3b, v17, -v9
	v_fmamk_f32 v16, v14, 0xbeae86e6, v18
	v_fmamk_f32 v17, v4, 0xbeae86e6, v19
	v_fma_f32 v12, 0xbf5ff5aa, v12, -v18
	v_fma_f32 v18, 0xbf5ff5aa, v3, -v19
	;; [unrolled: 1-line block ×4, first 2 shown]
	v_add_f32_e32 v20, v5, v6
	v_add_f32_e32 v21, v11, v7
	v_fmac_f32_e32 v16, 0xbee1c552, v10
	v_fmac_f32_e32 v17, 0xbee1c552, v2
	v_add_f32_e32 v11, v13, v6
	v_add_f32_e32 v13, v15, v7
	;; [unrolled: 1-line block ×4, first 2 shown]
	v_fmac_f32_e32 v12, 0xbee1c552, v10
	v_fmac_f32_e32 v19, 0xbee1c552, v2
	;; [unrolled: 1-line block ×4, first 2 shown]
	v_add_f32_e32 v2, v17, v20
	v_sub_f32_e32 v3, v21, v16
	v_add_f32_e32 v4, v19, v15
	v_sub_f32_e32 v5, v22, v14
	v_sub_f32_e32 v6, v11, v18
	v_add_f32_e32 v7, v12, v13
	v_add_f32_e32 v8, v18, v11
	v_sub_f32_e32 v9, v13, v12
	v_sub_f32_e32 v10, v15, v19
	v_add_f32_e32 v11, v14, v22
	v_sub_f32_e32 v12, v20, v17
	v_add_f32_e32 v13, v16, v21
	ds_write2_b64 v67, v[0:1], v[2:3] offset1:17
	ds_write2_b64 v67, v[4:5], v[6:7] offset0:34 offset1:51
	ds_write2_b64 v67, v[8:9], v[10:11] offset0:68 offset1:85
	ds_write_b64 v67, v[12:13] offset:816
	s_waitcnt lgkmcnt(0)
	s_barrier
	buffer_gl0_inv
	s_and_b32 exec_lo, exec_lo, vcc_lo
	s_cbranch_execz .LBB0_15
; %bb.14:
	global_load_dwordx2 v[0:1], v62, s[6:7]
	ds_read_b64 v[2:3], v67
	s_mov_b32 s4, 0x1135c811
	s_mov_b32 s5, 0x3f8135c8
	v_mad_u64_u32 v[6:7], null, s0, v64, 0
	s_mul_hi_u32 s8, s0, 56
	s_waitcnt vmcnt(0) lgkmcnt(0)
	v_mul_f32_e32 v4, v3, v1
	v_mul_f32_e32 v1, v2, v1
	v_fmac_f32_e32 v4, v2, v0
	v_fma_f32 v2, v0, v3, -v1
	v_cvt_f64_f32_e32 v[0:1], v4
	v_cvt_f64_f32_e32 v[2:3], v2
	v_mad_u64_u32 v[4:5], null, s2, v52, 0
	s_mul_i32 s2, s1, 56
	s_add_i32 s2, s8, s2
	v_mad_u64_u32 v[8:9], null, s3, v52, v[5:6]
	s_mul_i32 s3, s0, 56
	v_mad_u64_u32 v[9:10], null, s1, v64, v[7:8]
	v_mov_b32_e32 v5, v8
	v_mul_f64 v[0:1], v[0:1], s[4:5]
	v_mul_f64 v[2:3], v[2:3], s[4:5]
	v_mov_b32_e32 v7, v9
	v_cvt_f32_f64_e32 v0, v[0:1]
	v_cvt_f32_f64_e32 v1, v[2:3]
	v_lshlrev_b64 v[2:3], 3, v[4:5]
	v_lshlrev_b64 v[4:5], 3, v[6:7]
	v_add_co_u32 v9, vcc_lo, s12, v2
	v_add_co_ci_u32_e32 v10, vcc_lo, s13, v3, vcc_lo
	v_add_co_u32 v4, vcc_lo, v9, v4
	v_add_co_ci_u32_e32 v5, vcc_lo, v10, v5, vcc_lo
	global_store_dwordx2 v[4:5], v[0:1], off
	global_load_dwordx2 v[6:7], v62, s[6:7] offset:56
	ds_read2_b64 v[0:3], v67 offset0:7 offset1:14
	v_add_co_u32 v4, vcc_lo, v4, s3
	v_add_co_ci_u32_e32 v5, vcc_lo, s2, v5, vcc_lo
	s_waitcnt vmcnt(0) lgkmcnt(0)
	v_mul_f32_e32 v8, v1, v7
	v_mul_f32_e32 v7, v0, v7
	v_fmac_f32_e32 v8, v0, v6
	v_fma_f32 v6, v6, v1, -v7
	v_cvt_f64_f32_e32 v[0:1], v8
	v_cvt_f64_f32_e32 v[6:7], v6
	v_mul_f64 v[0:1], v[0:1], s[4:5]
	v_mul_f64 v[6:7], v[6:7], s[4:5]
	v_cvt_f32_f64_e32 v0, v[0:1]
	v_cvt_f32_f64_e32 v1, v[6:7]
	global_store_dwordx2 v[4:5], v[0:1], off
	global_load_dwordx2 v[0:1], v62, s[6:7] offset:112
	v_add_co_u32 v4, vcc_lo, v4, s3
	v_add_co_ci_u32_e32 v5, vcc_lo, s2, v5, vcc_lo
	s_waitcnt vmcnt(0)
	v_mul_f32_e32 v6, v3, v1
	v_mul_f32_e32 v1, v2, v1
	v_fmac_f32_e32 v6, v2, v0
	v_fma_f32 v2, v0, v3, -v1
	v_cvt_f64_f32_e32 v[0:1], v6
	v_cvt_f64_f32_e32 v[2:3], v2
	v_mul_f64 v[0:1], v[0:1], s[4:5]
	v_mul_f64 v[2:3], v[2:3], s[4:5]
	v_cvt_f32_f64_e32 v0, v[0:1]
	v_cvt_f32_f64_e32 v1, v[2:3]
	global_store_dwordx2 v[4:5], v[0:1], off
	global_load_dwordx2 v[6:7], v62, s[6:7] offset:168
	ds_read2_b64 v[0:3], v67 offset0:21 offset1:28
	v_add_co_u32 v4, vcc_lo, v4, s3
	v_add_co_ci_u32_e32 v5, vcc_lo, s2, v5, vcc_lo
	s_waitcnt vmcnt(0) lgkmcnt(0)
	v_mul_f32_e32 v8, v1, v7
	v_mul_f32_e32 v7, v0, v7
	v_fmac_f32_e32 v8, v0, v6
	v_fma_f32 v6, v6, v1, -v7
	v_cvt_f64_f32_e32 v[0:1], v8
	v_cvt_f64_f32_e32 v[6:7], v6
	v_mul_f64 v[0:1], v[0:1], s[4:5]
	v_mul_f64 v[6:7], v[6:7], s[4:5]
	v_cvt_f32_f64_e32 v0, v[0:1]
	v_cvt_f32_f64_e32 v1, v[6:7]
	global_store_dwordx2 v[4:5], v[0:1], off
	global_load_dwordx2 v[0:1], v62, s[6:7] offset:224
	v_add_co_u32 v4, vcc_lo, v4, s3
	v_add_co_ci_u32_e32 v5, vcc_lo, s2, v5, vcc_lo
	s_waitcnt vmcnt(0)
	v_mul_f32_e32 v6, v3, v1
	v_mul_f32_e32 v1, v2, v1
	v_fmac_f32_e32 v6, v2, v0
	v_fma_f32 v2, v0, v3, -v1
	v_cvt_f64_f32_e32 v[0:1], v6
	v_cvt_f64_f32_e32 v[2:3], v2
	v_mul_f64 v[0:1], v[0:1], s[4:5]
	v_mul_f64 v[2:3], v[2:3], s[4:5]
	v_cvt_f32_f64_e32 v0, v[0:1]
	v_cvt_f32_f64_e32 v1, v[2:3]
	;; [unrolled: 31-line block ×3, first 2 shown]
	global_store_dwordx2 v[4:5], v[0:1], off
	global_load_dwordx2 v[6:7], v62, s[6:7] offset:392
	ds_read2_b64 v[0:3], v67 offset0:49 offset1:56
	v_add_co_u32 v4, vcc_lo, v4, s3
	v_add_co_ci_u32_e32 v5, vcc_lo, s2, v5, vcc_lo
	s_waitcnt vmcnt(0) lgkmcnt(0)
	v_mul_f32_e32 v8, v1, v7
	v_mul_f32_e32 v7, v0, v7
	v_fmac_f32_e32 v8, v0, v6
	v_fma_f32 v6, v6, v1, -v7
	v_cvt_f64_f32_e32 v[0:1], v8
	v_cvt_f64_f32_e32 v[6:7], v6
	v_mul_f64 v[0:1], v[0:1], s[4:5]
	v_mul_f64 v[6:7], v[6:7], s[4:5]
	v_cvt_f32_f64_e32 v0, v[0:1]
	v_cvt_f32_f64_e32 v1, v[6:7]
	global_store_dwordx2 v[4:5], v[0:1], off
	global_load_dwordx2 v[0:1], v62, s[6:7] offset:448
	v_mad_u64_u32 v[4:5], null, 0x70, s0, v[4:5]
	s_waitcnt vmcnt(0)
	v_mul_f32_e32 v6, v3, v1
	v_mul_f32_e32 v1, v2, v1
	v_fmac_f32_e32 v6, v2, v0
	v_fma_f32 v2, v0, v3, -v1
	v_cvt_f64_f32_e32 v[0:1], v6
	v_cvt_f64_f32_e32 v[2:3], v2
	v_mad_u64_u32 v[6:7], null, s0, v63, 0
	v_mad_u64_u32 v[7:8], null, s1, v63, v[7:8]
	v_mul_f64 v[0:1], v[0:1], s[4:5]
	v_mul_f64 v[2:3], v[2:3], s[4:5]
	v_cvt_f32_f64_e32 v0, v[0:1]
	v_cvt_f32_f64_e32 v1, v[2:3]
	v_lshlrev_b64 v[2:3], 3, v[6:7]
	v_add_co_u32 v2, vcc_lo, v9, v2
	v_add_co_ci_u32_e32 v3, vcc_lo, v10, v3, vcc_lo
	global_store_dwordx2 v[2:3], v[0:1], off
	global_load_dwordx2 v[6:7], v62, s[6:7] offset:504
	ds_read2_b64 v[0:3], v67 offset0:63 offset1:70
	s_waitcnt vmcnt(0) lgkmcnt(0)
	v_mul_f32_e32 v8, v1, v7
	v_mul_f32_e32 v7, v0, v7
	v_fmac_f32_e32 v8, v0, v6
	v_fma_f32 v6, v6, v1, -v7
	v_cvt_f64_f32_e32 v[0:1], v8
	v_cvt_f64_f32_e32 v[6:7], v6
	v_mul_f64 v[0:1], v[0:1], s[4:5]
	v_mul_f64 v[6:7], v[6:7], s[4:5]
	v_cvt_f32_f64_e32 v0, v[0:1]
	v_cvt_f32_f64_e32 v1, v[6:7]
	v_mad_u64_u32 v[5:6], null, 0x70, s1, v[5:6]
	global_store_dwordx2 v[4:5], v[0:1], off
	global_load_dwordx2 v[0:1], v62, s[6:7] offset:560
	v_add_co_u32 v4, vcc_lo, v4, s3
	v_add_co_ci_u32_e32 v5, vcc_lo, s2, v5, vcc_lo
	s_waitcnt vmcnt(0)
	v_mul_f32_e32 v6, v3, v1
	v_mul_f32_e32 v1, v2, v1
	v_fmac_f32_e32 v6, v2, v0
	v_fma_f32 v2, v0, v3, -v1
	v_cvt_f64_f32_e32 v[0:1], v6
	v_cvt_f64_f32_e32 v[2:3], v2
	v_mul_f64 v[0:1], v[0:1], s[4:5]
	v_mul_f64 v[2:3], v[2:3], s[4:5]
	v_cvt_f32_f64_e32 v0, v[0:1]
	v_cvt_f32_f64_e32 v1, v[2:3]
	global_store_dwordx2 v[4:5], v[0:1], off
	global_load_dwordx2 v[6:7], v62, s[6:7] offset:616
	ds_read2_b64 v[0:3], v67 offset0:77 offset1:84
	v_add_co_u32 v4, vcc_lo, v4, s3
	v_add_co_ci_u32_e32 v5, vcc_lo, s2, v5, vcc_lo
	s_waitcnt vmcnt(0) lgkmcnt(0)
	v_mul_f32_e32 v8, v1, v7
	v_mul_f32_e32 v7, v0, v7
	v_fmac_f32_e32 v8, v0, v6
	v_fma_f32 v6, v6, v1, -v7
	v_cvt_f64_f32_e32 v[0:1], v8
	v_cvt_f64_f32_e32 v[6:7], v6
	v_mul_f64 v[0:1], v[0:1], s[4:5]
	v_mul_f64 v[6:7], v[6:7], s[4:5]
	v_cvt_f32_f64_e32 v0, v[0:1]
	v_cvt_f32_f64_e32 v1, v[6:7]
	global_store_dwordx2 v[4:5], v[0:1], off
	global_load_dwordx2 v[0:1], v62, s[6:7] offset:672
	v_add_co_u32 v4, vcc_lo, v4, s3
	v_add_co_ci_u32_e32 v5, vcc_lo, s2, v5, vcc_lo
	s_waitcnt vmcnt(0)
	v_mul_f32_e32 v6, v3, v1
	v_mul_f32_e32 v1, v2, v1
	v_fmac_f32_e32 v6, v2, v0
	v_fma_f32 v2, v0, v3, -v1
	v_cvt_f64_f32_e32 v[0:1], v6
	v_cvt_f64_f32_e32 v[2:3], v2
	v_mul_f64 v[0:1], v[0:1], s[4:5]
	v_mul_f64 v[2:3], v[2:3], s[4:5]
	v_cvt_f32_f64_e32 v0, v[0:1]
	v_cvt_f32_f64_e32 v1, v[2:3]
	global_store_dwordx2 v[4:5], v[0:1], off
	global_load_dwordx2 v[6:7], v62, s[6:7] offset:728
	ds_read2_b64 v[0:3], v67 offset0:91 offset1:98
	v_add_co_u32 v4, vcc_lo, v4, s3
	v_add_co_ci_u32_e32 v5, vcc_lo, s2, v5, vcc_lo
	s_waitcnt vmcnt(0) lgkmcnt(0)
	v_mul_f32_e32 v8, v1, v7
	v_mul_f32_e32 v7, v0, v7
	v_fmac_f32_e32 v8, v0, v6
	v_fma_f32 v6, v6, v1, -v7
	v_cvt_f64_f32_e32 v[0:1], v8
	v_cvt_f64_f32_e32 v[6:7], v6
	v_mul_f64 v[0:1], v[0:1], s[4:5]
	v_mul_f64 v[6:7], v[6:7], s[4:5]
	v_cvt_f32_f64_e32 v0, v[0:1]
	v_cvt_f32_f64_e32 v1, v[6:7]
	;; [unrolled: 31-line block ×3, first 2 shown]
	global_store_dwordx2 v[4:5], v[0:1], off
	global_load_dwordx2 v[0:1], v62, s[6:7] offset:896
	s_waitcnt vmcnt(0)
	v_mul_f32_e32 v4, v3, v1
	v_mul_f32_e32 v1, v2, v1
	v_fmac_f32_e32 v4, v2, v0
	v_fma_f32 v2, v0, v3, -v1
	v_cvt_f64_f32_e32 v[0:1], v4
	v_cvt_f64_f32_e32 v[2:3], v2
	v_mad_u64_u32 v[4:5], null, s0, v61, 0
	v_mad_u64_u32 v[5:6], null, s1, v61, v[5:6]
	v_mul_f64 v[0:1], v[0:1], s[4:5]
	v_mul_f64 v[2:3], v[2:3], s[4:5]
	v_cvt_f32_f64_e32 v0, v[0:1]
	v_cvt_f32_f64_e32 v1, v[2:3]
	v_lshlrev_b64 v[2:3], 3, v[4:5]
	v_add_co_u32 v2, vcc_lo, v9, v2
	v_add_co_ci_u32_e32 v3, vcc_lo, v10, v3, vcc_lo
	global_store_dwordx2 v[2:3], v[0:1], off
.LBB0_15:
	s_endpgm
	.section	.rodata,"a",@progbits
	.p2align	6, 0x0
	.amdhsa_kernel bluestein_single_back_len119_dim1_sp_op_CI_CI
		.amdhsa_group_segment_fixed_size 14280
		.amdhsa_private_segment_fixed_size 0
		.amdhsa_kernarg_size 104
		.amdhsa_user_sgpr_count 6
		.amdhsa_user_sgpr_private_segment_buffer 1
		.amdhsa_user_sgpr_dispatch_ptr 0
		.amdhsa_user_sgpr_queue_ptr 0
		.amdhsa_user_sgpr_kernarg_segment_ptr 1
		.amdhsa_user_sgpr_dispatch_id 0
		.amdhsa_user_sgpr_flat_scratch_init 0
		.amdhsa_user_sgpr_private_segment_size 0
		.amdhsa_wavefront_size32 1
		.amdhsa_uses_dynamic_stack 0
		.amdhsa_system_sgpr_private_segment_wavefront_offset 0
		.amdhsa_system_sgpr_workgroup_id_x 1
		.amdhsa_system_sgpr_workgroup_id_y 0
		.amdhsa_system_sgpr_workgroup_id_z 0
		.amdhsa_system_sgpr_workgroup_info 0
		.amdhsa_system_vgpr_workitem_id 0
		.amdhsa_next_free_vgpr 244
		.amdhsa_next_free_sgpr 14
		.amdhsa_reserve_vcc 1
		.amdhsa_reserve_flat_scratch 0
		.amdhsa_float_round_mode_32 0
		.amdhsa_float_round_mode_16_64 0
		.amdhsa_float_denorm_mode_32 3
		.amdhsa_float_denorm_mode_16_64 3
		.amdhsa_dx10_clamp 1
		.amdhsa_ieee_mode 1
		.amdhsa_fp16_overflow 0
		.amdhsa_workgroup_processor_mode 1
		.amdhsa_memory_ordered 1
		.amdhsa_forward_progress 0
		.amdhsa_shared_vgpr_count 0
		.amdhsa_exception_fp_ieee_invalid_op 0
		.amdhsa_exception_fp_denorm_src 0
		.amdhsa_exception_fp_ieee_div_zero 0
		.amdhsa_exception_fp_ieee_overflow 0
		.amdhsa_exception_fp_ieee_underflow 0
		.amdhsa_exception_fp_ieee_inexact 0
		.amdhsa_exception_int_div_zero 0
	.end_amdhsa_kernel
	.text
.Lfunc_end0:
	.size	bluestein_single_back_len119_dim1_sp_op_CI_CI, .Lfunc_end0-bluestein_single_back_len119_dim1_sp_op_CI_CI
                                        ; -- End function
	.section	.AMDGPU.csdata,"",@progbits
; Kernel info:
; codeLenInByte = 15396
; NumSgprs: 16
; NumVgprs: 244
; ScratchSize: 0
; MemoryBound: 0
; FloatMode: 240
; IeeeMode: 1
; LDSByteSize: 14280 bytes/workgroup (compile time only)
; SGPRBlocks: 1
; VGPRBlocks: 30
; NumSGPRsForWavesPerEU: 16
; NumVGPRsForWavesPerEU: 244
; Occupancy: 4
; WaveLimiterHint : 1
; COMPUTE_PGM_RSRC2:SCRATCH_EN: 0
; COMPUTE_PGM_RSRC2:USER_SGPR: 6
; COMPUTE_PGM_RSRC2:TRAP_HANDLER: 0
; COMPUTE_PGM_RSRC2:TGID_X_EN: 1
; COMPUTE_PGM_RSRC2:TGID_Y_EN: 0
; COMPUTE_PGM_RSRC2:TGID_Z_EN: 0
; COMPUTE_PGM_RSRC2:TIDIG_COMP_CNT: 0
	.text
	.p2alignl 6, 3214868480
	.fill 48, 4, 3214868480
	.type	__hip_cuid_9703daea57f2e6d4,@object ; @__hip_cuid_9703daea57f2e6d4
	.section	.bss,"aw",@nobits
	.globl	__hip_cuid_9703daea57f2e6d4
__hip_cuid_9703daea57f2e6d4:
	.byte	0                               ; 0x0
	.size	__hip_cuid_9703daea57f2e6d4, 1

	.ident	"AMD clang version 19.0.0git (https://github.com/RadeonOpenCompute/llvm-project roc-6.4.0 25133 c7fe45cf4b819c5991fe208aaa96edf142730f1d)"
	.section	".note.GNU-stack","",@progbits
	.addrsig
	.addrsig_sym __hip_cuid_9703daea57f2e6d4
	.amdgpu_metadata
---
amdhsa.kernels:
  - .args:
      - .actual_access:  read_only
        .address_space:  global
        .offset:         0
        .size:           8
        .value_kind:     global_buffer
      - .actual_access:  read_only
        .address_space:  global
        .offset:         8
        .size:           8
        .value_kind:     global_buffer
      - .actual_access:  read_only
        .address_space:  global
        .offset:         16
        .size:           8
        .value_kind:     global_buffer
      - .actual_access:  read_only
        .address_space:  global
        .offset:         24
        .size:           8
        .value_kind:     global_buffer
      - .actual_access:  read_only
        .address_space:  global
        .offset:         32
        .size:           8
        .value_kind:     global_buffer
      - .offset:         40
        .size:           8
        .value_kind:     by_value
      - .address_space:  global
        .offset:         48
        .size:           8
        .value_kind:     global_buffer
      - .address_space:  global
        .offset:         56
        .size:           8
        .value_kind:     global_buffer
      - .address_space:  global
        .offset:         64
        .size:           8
        .value_kind:     global_buffer
      - .address_space:  global
        .offset:         72
        .size:           8
        .value_kind:     global_buffer
      - .offset:         80
        .size:           4
        .value_kind:     by_value
      - .address_space:  global
        .offset:         88
        .size:           8
        .value_kind:     global_buffer
      - .address_space:  global
        .offset:         96
        .size:           8
        .value_kind:     global_buffer
    .group_segment_fixed_size: 14280
    .kernarg_segment_align: 8
    .kernarg_segment_size: 104
    .language:       OpenCL C
    .language_version:
      - 2
      - 0
    .max_flat_workgroup_size: 255
    .name:           bluestein_single_back_len119_dim1_sp_op_CI_CI
    .private_segment_fixed_size: 0
    .sgpr_count:     16
    .sgpr_spill_count: 0
    .symbol:         bluestein_single_back_len119_dim1_sp_op_CI_CI.kd
    .uniform_work_group_size: 1
    .uses_dynamic_stack: false
    .vgpr_count:     244
    .vgpr_spill_count: 0
    .wavefront_size: 32
    .workgroup_processor_mode: 1
amdhsa.target:   amdgcn-amd-amdhsa--gfx1030
amdhsa.version:
  - 1
  - 2
...

	.end_amdgpu_metadata
